;; amdgpu-corpus repo=LLNL/RAJAPerf kind=compiled arch=gfx906 opt=O3
	.amdgcn_target "amdgcn-amd-amdhsa--gfx906"
	.amdhsa_code_object_version 6
	.text
	.protected	_Z13matMultKerneliPdS_S_ ; -- Begin function _Z13matMultKerneliPdS_S_
	.globl	_Z13matMultKerneliPdS_S_
	.p2align	8
	.type	_Z13matMultKerneliPdS_S_,@function
_Z13matMultKerneliPdS_S_:               ; @_Z13matMultKerneliPdS_S_
; %bb.0:
	s_load_dword s0, s[4:5], 0x2c
	s_load_dword s8, s[4:5], 0x0
	s_waitcnt lgkmcnt(0)
	s_lshr_b32 s1, s0, 16
	s_and_b32 s0, s0, 0xffff
	s_mul_i32 s7, s7, s1
	s_mul_i32 s6, s6, s0
	v_add_u32_e32 v1, s7, v1
	v_add_u32_e32 v7, s6, v0
	v_max_i32_e32 v0, v1, v7
	v_cmp_gt_i32_e32 vcc, s8, v0
	s_and_saveexec_b64 s[0:1], vcc
	s_cbranch_execz .LBB0_6
; %bb.1:
	s_load_dwordx4 s[0:3], s[4:5], 0x8
	s_load_dwordx2 s[6:7], s[4:5], 0x18
	v_mul_lo_u32 v0, v1, s8
	s_cmp_lt_i32 s8, 1
	s_cbranch_scc1 .LBB0_4
; %bb.2:
	v_ashrrev_i32_e32 v1, 31, v0
	v_lshlrev_b64 v[1:2], 3, v[0:1]
	s_waitcnt lgkmcnt(0)
	v_mov_b32_e32 v4, s3
	v_add_co_u32_e32 v3, vcc, s2, v1
	v_addc_co_u32_e32 v4, vcc, v4, v2, vcc
	v_mov_b32_e32 v1, 0
	v_mov_b32_e32 v2, 0
	;; [unrolled: 1-line block ×4, first 2 shown]
	s_mov_b32 s2, s8
.LBB0_3:                                ; =>This Inner Loop Header: Depth=1
	v_ashrrev_i32_e32 v6, 31, v5
	v_lshlrev_b64 v[11:12], 3, v[5:6]
	global_load_dwordx2 v[9:10], v[3:4], off
	v_add_co_u32_e32 v11, vcc, s6, v11
	v_addc_co_u32_e32 v12, vcc, v8, v12, vcc
	global_load_dwordx2 v[11:12], v[11:12], off
	s_add_i32 s2, s2, -1
	v_add_co_u32_e32 v3, vcc, 8, v3
	v_addc_co_u32_e32 v4, vcc, 0, v4, vcc
	s_cmp_eq_u32 s2, 0
	v_add_u32_e32 v5, s8, v5
	s_waitcnt vmcnt(0)
	v_fma_f64 v[1:2], v[9:10], v[11:12], v[1:2]
	s_cbranch_scc0 .LBB0_3
	s_branch .LBB0_5
.LBB0_4:
	v_mov_b32_e32 v1, 0
	v_mov_b32_e32 v2, 0
.LBB0_5:
	v_add_u32_e32 v3, v7, v0
	v_ashrrev_i32_e32 v4, 31, v3
	v_lshlrev_b64 v[3:4], 3, v[3:4]
	s_waitcnt lgkmcnt(0)
	v_mov_b32_e32 v0, s1
	v_add_co_u32_e32 v3, vcc, s0, v3
	v_addc_co_u32_e32 v4, vcc, v0, v4, vcc
	global_store_dwordx2 v[3:4], v[1:2], off
.LBB0_6:
	s_endpgm
	.section	.rodata,"a",@progbits
	.p2align	6, 0x0
	.amdhsa_kernel _Z13matMultKerneliPdS_S_
		.amdhsa_group_segment_fixed_size 0
		.amdhsa_private_segment_fixed_size 0
		.amdhsa_kernarg_size 288
		.amdhsa_user_sgpr_count 6
		.amdhsa_user_sgpr_private_segment_buffer 1
		.amdhsa_user_sgpr_dispatch_ptr 0
		.amdhsa_user_sgpr_queue_ptr 0
		.amdhsa_user_sgpr_kernarg_segment_ptr 1
		.amdhsa_user_sgpr_dispatch_id 0
		.amdhsa_user_sgpr_flat_scratch_init 0
		.amdhsa_user_sgpr_private_segment_size 0
		.amdhsa_uses_dynamic_stack 0
		.amdhsa_system_sgpr_private_segment_wavefront_offset 0
		.amdhsa_system_sgpr_workgroup_id_x 1
		.amdhsa_system_sgpr_workgroup_id_y 1
		.amdhsa_system_sgpr_workgroup_id_z 0
		.amdhsa_system_sgpr_workgroup_info 0
		.amdhsa_system_vgpr_workitem_id 1
		.amdhsa_next_free_vgpr 13
		.amdhsa_next_free_sgpr 9
		.amdhsa_reserve_vcc 1
		.amdhsa_reserve_flat_scratch 0
		.amdhsa_float_round_mode_32 0
		.amdhsa_float_round_mode_16_64 0
		.amdhsa_float_denorm_mode_32 3
		.amdhsa_float_denorm_mode_16_64 3
		.amdhsa_dx10_clamp 1
		.amdhsa_ieee_mode 1
		.amdhsa_fp16_overflow 0
		.amdhsa_exception_fp_ieee_invalid_op 0
		.amdhsa_exception_fp_denorm_src 0
		.amdhsa_exception_fp_ieee_div_zero 0
		.amdhsa_exception_fp_ieee_overflow 0
		.amdhsa_exception_fp_ieee_underflow 0
		.amdhsa_exception_fp_ieee_inexact 0
		.amdhsa_exception_int_div_zero 0
	.end_amdhsa_kernel
	.text
.Lfunc_end0:
	.size	_Z13matMultKerneliPdS_S_, .Lfunc_end0-_Z13matMultKerneliPdS_S_
                                        ; -- End function
	.set _Z13matMultKerneliPdS_S_.num_vgpr, 13
	.set _Z13matMultKerneliPdS_S_.num_agpr, 0
	.set _Z13matMultKerneliPdS_S_.numbered_sgpr, 9
	.set _Z13matMultKerneliPdS_S_.num_named_barrier, 0
	.set _Z13matMultKerneliPdS_S_.private_seg_size, 0
	.set _Z13matMultKerneliPdS_S_.uses_vcc, 1
	.set _Z13matMultKerneliPdS_S_.uses_flat_scratch, 0
	.set _Z13matMultKerneliPdS_S_.has_dyn_sized_stack, 0
	.set _Z13matMultKerneliPdS_S_.has_recursion, 0
	.set _Z13matMultKerneliPdS_S_.has_indirect_call, 0
	.section	.AMDGPU.csdata,"",@progbits
; Kernel info:
; codeLenInByte = 272
; TotalNumSgprs: 13
; NumVgprs: 13
; ScratchSize: 0
; MemoryBound: 0
; FloatMode: 240
; IeeeMode: 1
; LDSByteSize: 0 bytes/workgroup (compile time only)
; SGPRBlocks: 1
; VGPRBlocks: 3
; NumSGPRsForWavesPerEU: 13
; NumVGPRsForWavesPerEU: 13
; Occupancy: 10
; WaveLimiterHint : 0
; COMPUTE_PGM_RSRC2:SCRATCH_EN: 0
; COMPUTE_PGM_RSRC2:USER_SGPR: 6
; COMPUTE_PGM_RSRC2:TRAP_HANDLER: 0
; COMPUTE_PGM_RSRC2:TGID_X_EN: 1
; COMPUTE_PGM_RSRC2:TGID_Y_EN: 1
; COMPUTE_PGM_RSRC2:TGID_Z_EN: 0
; COMPUTE_PGM_RSRC2:TIDIG_COMP_CNT: 1
	.section	.text._ZN4RAJA8internal22HipKernelLauncherFixedILi1024ENS0_8LoopDataIN4camp5tupleIJNS_4SpanINS_9Iterators16numeric_iteratorIiiPiEEiEESA_EEENS4_IJEEENS3_9resources2v13HipEJZ4mainEUliiE0_EEENS0_24HipStatementListExecutorISH_NS3_4listIJNS_9statement3ForILl1ENS_6policy3hip11hip_indexerINS_17iteration_mapping11StridedLoopILm0EEELNS_23kernel_sync_requirementE0EJNS_3hip11IndexGlobalILNS_9named_dimE0ELin1ELi0EEEEEEJNSL_ILl0ENSO_ISR_LSS_0EJNSU_ILSV_0ELi0ELin1EEEEEEJNSK_6LambdaILl0EJEEEEEEEEEEEENS0_9LoopTypesINSJ_IJvvEEES16_EEEEEEvT0_,"axG",@progbits,_ZN4RAJA8internal22HipKernelLauncherFixedILi1024ENS0_8LoopDataIN4camp5tupleIJNS_4SpanINS_9Iterators16numeric_iteratorIiiPiEEiEESA_EEENS4_IJEEENS3_9resources2v13HipEJZ4mainEUliiE0_EEENS0_24HipStatementListExecutorISH_NS3_4listIJNS_9statement3ForILl1ENS_6policy3hip11hip_indexerINS_17iteration_mapping11StridedLoopILm0EEELNS_23kernel_sync_requirementE0EJNS_3hip11IndexGlobalILNS_9named_dimE0ELin1ELi0EEEEEEJNSL_ILl0ENSO_ISR_LSS_0EJNSU_ILSV_0ELi0ELin1EEEEEEJNSK_6LambdaILl0EJEEEEEEEEEEEENS0_9LoopTypesINSJ_IJvvEEES16_EEEEEEvT0_,comdat
	.globl	_ZN4RAJA8internal22HipKernelLauncherFixedILi1024ENS0_8LoopDataIN4camp5tupleIJNS_4SpanINS_9Iterators16numeric_iteratorIiiPiEEiEESA_EEENS4_IJEEENS3_9resources2v13HipEJZ4mainEUliiE0_EEENS0_24HipStatementListExecutorISH_NS3_4listIJNS_9statement3ForILl1ENS_6policy3hip11hip_indexerINS_17iteration_mapping11StridedLoopILm0EEELNS_23kernel_sync_requirementE0EJNS_3hip11IndexGlobalILNS_9named_dimE0ELin1ELi0EEEEEEJNSL_ILl0ENSO_ISR_LSS_0EJNSU_ILSV_0ELi0ELin1EEEEEEJNSK_6LambdaILl0EJEEEEEEEEEEEENS0_9LoopTypesINSJ_IJvvEEES16_EEEEEEvT0_ ; -- Begin function _ZN4RAJA8internal22HipKernelLauncherFixedILi1024ENS0_8LoopDataIN4camp5tupleIJNS_4SpanINS_9Iterators16numeric_iteratorIiiPiEEiEESA_EEENS4_IJEEENS3_9resources2v13HipEJZ4mainEUliiE0_EEENS0_24HipStatementListExecutorISH_NS3_4listIJNS_9statement3ForILl1ENS_6policy3hip11hip_indexerINS_17iteration_mapping11StridedLoopILm0EEELNS_23kernel_sync_requirementE0EJNS_3hip11IndexGlobalILNS_9named_dimE0ELin1ELi0EEEEEEJNSL_ILl0ENSO_ISR_LSS_0EJNSU_ILSV_0ELi0ELin1EEEEEEJNSK_6LambdaILl0EJEEEEEEEEEEEENS0_9LoopTypesINSJ_IJvvEEES16_EEEEEEvT0_
	.p2align	8
	.type	_ZN4RAJA8internal22HipKernelLauncherFixedILi1024ENS0_8LoopDataIN4camp5tupleIJNS_4SpanINS_9Iterators16numeric_iteratorIiiPiEEiEESA_EEENS4_IJEEENS3_9resources2v13HipEJZ4mainEUliiE0_EEENS0_24HipStatementListExecutorISH_NS3_4listIJNS_9statement3ForILl1ENS_6policy3hip11hip_indexerINS_17iteration_mapping11StridedLoopILm0EEELNS_23kernel_sync_requirementE0EJNS_3hip11IndexGlobalILNS_9named_dimE0ELin1ELi0EEEEEEJNSL_ILl0ENSO_ISR_LSS_0EJNSU_ILSV_0ELi0ELin1EEEEEEJNSK_6LambdaILl0EJEEEEEEEEEEEENS0_9LoopTypesINSJ_IJvvEEES16_EEEEEEvT0_,@function
_ZN4RAJA8internal22HipKernelLauncherFixedILi1024ENS0_8LoopDataIN4camp5tupleIJNS_4SpanINS_9Iterators16numeric_iteratorIiiPiEEiEESA_EEENS4_IJEEENS3_9resources2v13HipEJZ4mainEUliiE0_EEENS0_24HipStatementListExecutorISH_NS3_4listIJNS_9statement3ForILl1ENS_6policy3hip11hip_indexerINS_17iteration_mapping11StridedLoopILm0EEELNS_23kernel_sync_requirementE0EJNS_3hip11IndexGlobalILNS_9named_dimE0ELin1ELi0EEEEEEJNSL_ILl0ENSO_ISR_LSS_0EJNSU_ILSV_0ELi0ELin1EEEEEEJNSK_6LambdaILl0EJEEEEEEEEEEEENS0_9LoopTypesINSJ_IJvvEEES16_EEEEEEvT0_: ; @_ZN4RAJA8internal22HipKernelLauncherFixedILi1024ENS0_8LoopDataIN4camp5tupleIJNS_4SpanINS_9Iterators16numeric_iteratorIiiPiEEiEESA_EEENS4_IJEEENS3_9resources2v13HipEJZ4mainEUliiE0_EEENS0_24HipStatementListExecutorISH_NS3_4listIJNS_9statement3ForILl1ENS_6policy3hip11hip_indexerINS_17iteration_mapping11StridedLoopILm0EEELNS_23kernel_sync_requirementE0EJNS_3hip11IndexGlobalILNS_9named_dimE0ELin1ELi0EEEEEEJNSL_ILl0ENSO_ISR_LSS_0EJNSU_ILSV_0ELi0ELin1EEEEEEJNSK_6LambdaILl0EJEEEEEEEEEEEENS0_9LoopTypesINSJ_IJvvEEES16_EEEEEEvT0_
; %bb.0:
	s_load_dwordx2 s[16:17], s[4:5], 0x8
	s_waitcnt lgkmcnt(0)
	s_sub_i32 s7, s17, s16
	s_cmp_ge_i32 s6, s7
	s_cbranch_scc1 .LBB1_8
; %bb.1:
	s_load_dwordx2 s[18:19], s[4:5], 0x0
	s_load_dword s17, s[4:5], 0x110
	s_load_dwordx2 s[20:21], s[4:5], 0x28
	s_add_u32 s0, s4, 0x110
	s_addc_u32 s1, s5, 0
	s_waitcnt lgkmcnt(0)
	s_sub_i32 s19, s19, s18
	s_cmp_lt_u32 s6, s17
	s_cselect_b32 s2, 12, 18
	s_add_u32 s0, s0, s2
	s_addc_u32 s1, s1, 0
	v_mov_b32_e32 v11, 0
	global_load_ushort v12, v11, s[0:1]
	v_add_u32_e32 v1, s18, v0
	s_load_dwordx4 s[0:3], s[4:5], 0x88
	s_load_dwordx4 s[8:11], s[4:5], 0xd0
	;; [unrolled: 1-line block ×3, first 2 shown]
	s_load_dwordx2 s[34:35], s[4:5], 0x70
	s_load_dwordx2 s[22:23], s[4:5], 0xb8
	v_ashrrev_i32_e32 v3, 31, v1
	s_waitcnt lgkmcnt(0)
	v_mul_lo_u32 v5, s3, v1
	v_mad_u64_u32 v[1:2], s[4:5], s2, v1, 0
	v_mul_lo_u32 v3, s2, v3
	s_mul_i32 s26, s15, 24
	s_mul_hi_u32 s27, s14, 24
	s_mul_i32 s24, s1, 24
	v_add3_u32 v2, v2, v3, v5
	v_lshlrev_b64 v[1:2], 3, v[1:2]
	s_mul_hi_u32 s25, s0, 24
	s_mul_i32 s33, s0, 24
	v_mov_b32_e32 v4, s35
	s_lshl_b64 s[4:5], s[0:1], 5
	s_add_i32 s41, s27, s26
	s_lshl_b64 s[26:27], s[0:1], 4
	s_lshl_b64 s[30:31], s[0:1], 3
	v_add_co_u32_e64 v1, s[0:1], s34, v1
	v_addc_co_u32_e64 v2, s[0:1], v4, v2, s[0:1]
	s_add_i32 s35, s25, s24
	s_mul_i32 s40, s14, 24
	v_cmp_gt_i32_e32 vcc, s19, v0
	s_lshl_b64 s[12:13], s[12:13], 3
	s_add_i32 s42, s16, s6
	s_lshl_b64 s[24:25], s[14:15], 5
	s_lshl_b64 s[28:29], s[14:15], 4
	;; [unrolled: 1-line block ×3, first 2 shown]
	v_mov_b32_e32 v13, s31
	v_mov_b32_e32 v14, s27
	;; [unrolled: 1-line block ×4, first 2 shown]
	s_waitcnt vmcnt(0)
	v_mul_lo_u32 v5, s3, v12
	v_mul_hi_u32 v6, s2, v12
	v_mul_lo_u32 v3, s2, v12
	v_add_u32_e32 v4, v6, v5
	v_lshlrev_b64 v[3:4], 3, v[3:4]
	s_branch .LBB1_3
.LBB1_2:                                ;   in Loop: Header=BB1_3 Depth=1
	s_or_b64 exec, exec, s[2:3]
	s_add_i32 s6, s6, s17
	s_add_i32 s42, s42, s17
	s_cmp_lt_i32 s6, s7
	s_cbranch_scc0 .LBB1_8
.LBB1_3:                                ; =>This Loop Header: Depth=1
                                        ;     Child Loop BB1_5 Depth 2
                                        ;       Child Loop BB1_6 Depth 3
	s_and_saveexec_b64 s[2:3], vcc
	s_cbranch_execz .LBB1_2
; %bb.4:                                ;   in Loop: Header=BB1_3 Depth=1
	s_ashr_i32 s0, s42, 31
	s_mul_hi_u32 s1, s12, s42
	s_mul_i32 s0, s12, s0
	s_add_i32 s0, s1, s0
	s_mul_i32 s1, s13, s42
	s_add_i32 s0, s0, s1
	s_mul_i32 s1, s12, s42
	s_add_u32 s34, s20, s1
	s_addc_u32 s35, s21, s0
	s_add_i32 s0, s6, s16
	s_ashr_i32 s1, s0, 31
	s_mul_i32 s1, s8, s1
	s_mul_hi_u32 s5, s8, s0
	s_add_i32 s1, s5, s1
	s_mul_i32 s5, s9, s0
	s_add_i32 s1, s1, s5
	s_mul_i32 s0, s8, s0
	s_lshl_b64 s[0:1], s[0:1], 3
	s_add_u32 s5, s22, s0
	s_addc_u32 s0, s23, s1
	v_mov_b32_e32 v6, v2
	s_mov_b64 s[36:37], 0
	v_mov_b32_e32 v17, s0
	v_mov_b32_e32 v5, v1
	;; [unrolled: 1-line block ×3, first 2 shown]
.LBB1_5:                                ;   Parent Loop BB1_3 Depth=1
                                        ; =>  This Loop Header: Depth=2
                                        ;       Child Loop BB1_6 Depth 3
	v_mov_b32_e32 v7, 0
	v_mov_b32_e32 v10, v6
	;; [unrolled: 1-line block ×3, first 2 shown]
	s_movk_i32 s27, 0x3e8
	s_mov_b64 s[38:39], s[34:35]
	v_mov_b32_e32 v9, v5
.LBB1_6:                                ;   Parent Loop BB1_3 Depth=1
                                        ;     Parent Loop BB1_5 Depth=2
                                        ; =>    This Inner Loop Header: Depth=3
	global_load_dwordx2 v[19:20], v11, s[38:39]
	global_load_dwordx2 v[21:22], v[9:10], off
	v_add_co_u32_e64 v23, s[0:1], s30, v9
	s_add_u32 s44, s38, s14
	v_addc_co_u32_e64 v24, s[0:1], v10, v13, s[0:1]
	s_addc_u32 s45, s39, s15
	global_load_dwordx2 v[25:26], v[23:24], off
	global_load_dwordx2 v[27:28], v11, s[44:45]
	v_add_co_u32_e64 v23, s[0:1], s26, v9
	v_addc_co_u32_e64 v24, s[0:1], v10, v14, s[0:1]
	s_add_u32 s0, s38, s28
	s_addc_u32 s1, s39, s29
	global_load_dwordx2 v[23:24], v[23:24], off
	s_waitcnt vmcnt(3)
	v_fma_f64 v[7:8], v[19:20], v[21:22], v[7:8]
	global_load_dwordx2 v[29:30], v11, s[0:1]
	v_add_co_u32_e64 v31, s[0:1], s33, v9
	v_addc_co_u32_e64 v32, s[0:1], v10, v15, s[0:1]
	s_add_u32 s0, s38, s40
	s_addc_u32 s1, s39, s41
	global_load_dwordx2 v[31:32], v[31:32], off
	s_waitcnt vmcnt(3)
	v_fma_f64 v[7:8], v[27:28], v[25:26], v[7:8]
	global_load_dwordx2 v[33:34], v11, s[0:1]
	s_add_u32 s38, s38, s24
	v_add_co_u32_e64 v9, s[0:1], s4, v9
	s_addc_u32 s39, s39, s25
	s_add_i32 s27, s27, -4
	s_cmp_lg_u32 s27, 0
	v_addc_co_u32_e64 v10, s[0:1], v10, v16, s[0:1]
	s_waitcnt vmcnt(2)
	v_fma_f64 v[7:8], v[29:30], v[23:24], v[7:8]
	s_waitcnt vmcnt(0)
	v_fma_f64 v[7:8], v[33:34], v[31:32], v[7:8]
	s_cbranch_scc1 .LBB1_6
; %bb.7:                                ;   in Loop: Header=BB1_5 Depth=2
	v_add_u32_e32 v9, s18, v18
	v_ashrrev_i32_e32 v19, 31, v9
	v_mul_lo_u32 v20, s11, v9
	v_mad_u64_u32 v[9:10], s[0:1], s10, v9, 0
	v_mul_lo_u32 v19, s10, v19
	v_add_u32_e32 v18, v18, v12
	v_add3_u32 v10, v10, v19, v20
	v_lshlrev_b64 v[9:10], 3, v[9:10]
	v_add_co_u32_e64 v9, s[0:1], s5, v9
	v_addc_co_u32_e64 v10, s[0:1], v17, v10, s[0:1]
	v_cmp_le_i32_e64 s[0:1], s19, v18
	s_or_b64 s[36:37], s[0:1], s[36:37]
	v_add_co_u32_e64 v5, s[0:1], v5, v3
	v_addc_co_u32_e64 v6, s[0:1], v6, v4, s[0:1]
	global_store_dwordx2 v[9:10], v[7:8], off
	s_andn2_b64 exec, exec, s[36:37]
	s_cbranch_execnz .LBB1_5
	s_branch .LBB1_2
.LBB1_8:
	s_endpgm
	.section	.rodata,"a",@progbits
	.p2align	6, 0x0
	.amdhsa_kernel _ZN4RAJA8internal22HipKernelLauncherFixedILi1024ENS0_8LoopDataIN4camp5tupleIJNS_4SpanINS_9Iterators16numeric_iteratorIiiPiEEiEESA_EEENS4_IJEEENS3_9resources2v13HipEJZ4mainEUliiE0_EEENS0_24HipStatementListExecutorISH_NS3_4listIJNS_9statement3ForILl1ENS_6policy3hip11hip_indexerINS_17iteration_mapping11StridedLoopILm0EEELNS_23kernel_sync_requirementE0EJNS_3hip11IndexGlobalILNS_9named_dimE0ELin1ELi0EEEEEEJNSL_ILl0ENSO_ISR_LSS_0EJNSU_ILSV_0ELi0ELin1EEEEEEJNSK_6LambdaILl0EJEEEEEEEEEEEENS0_9LoopTypesINSJ_IJvvEEES16_EEEEEEvT0_
		.amdhsa_group_segment_fixed_size 0
		.amdhsa_private_segment_fixed_size 0
		.amdhsa_kernarg_size 528
		.amdhsa_user_sgpr_count 6
		.amdhsa_user_sgpr_private_segment_buffer 1
		.amdhsa_user_sgpr_dispatch_ptr 0
		.amdhsa_user_sgpr_queue_ptr 0
		.amdhsa_user_sgpr_kernarg_segment_ptr 1
		.amdhsa_user_sgpr_dispatch_id 0
		.amdhsa_user_sgpr_flat_scratch_init 0
		.amdhsa_user_sgpr_private_segment_size 0
		.amdhsa_uses_dynamic_stack 0
		.amdhsa_system_sgpr_private_segment_wavefront_offset 0
		.amdhsa_system_sgpr_workgroup_id_x 1
		.amdhsa_system_sgpr_workgroup_id_y 0
		.amdhsa_system_sgpr_workgroup_id_z 0
		.amdhsa_system_sgpr_workgroup_info 0
		.amdhsa_system_vgpr_workitem_id 0
		.amdhsa_next_free_vgpr 35
		.amdhsa_next_free_sgpr 46
		.amdhsa_reserve_vcc 1
		.amdhsa_reserve_flat_scratch 0
		.amdhsa_float_round_mode_32 0
		.amdhsa_float_round_mode_16_64 0
		.amdhsa_float_denorm_mode_32 3
		.amdhsa_float_denorm_mode_16_64 3
		.amdhsa_dx10_clamp 1
		.amdhsa_ieee_mode 1
		.amdhsa_fp16_overflow 0
		.amdhsa_exception_fp_ieee_invalid_op 0
		.amdhsa_exception_fp_denorm_src 0
		.amdhsa_exception_fp_ieee_div_zero 0
		.amdhsa_exception_fp_ieee_overflow 0
		.amdhsa_exception_fp_ieee_underflow 0
		.amdhsa_exception_fp_ieee_inexact 0
		.amdhsa_exception_int_div_zero 0
	.end_amdhsa_kernel
	.section	.text._ZN4RAJA8internal22HipKernelLauncherFixedILi1024ENS0_8LoopDataIN4camp5tupleIJNS_4SpanINS_9Iterators16numeric_iteratorIiiPiEEiEESA_EEENS4_IJEEENS3_9resources2v13HipEJZ4mainEUliiE0_EEENS0_24HipStatementListExecutorISH_NS3_4listIJNS_9statement3ForILl1ENS_6policy3hip11hip_indexerINS_17iteration_mapping11StridedLoopILm0EEELNS_23kernel_sync_requirementE0EJNS_3hip11IndexGlobalILNS_9named_dimE0ELin1ELi0EEEEEEJNSL_ILl0ENSO_ISR_LSS_0EJNSU_ILSV_0ELi0ELin1EEEEEEJNSK_6LambdaILl0EJEEEEEEEEEEEENS0_9LoopTypesINSJ_IJvvEEES16_EEEEEEvT0_,"axG",@progbits,_ZN4RAJA8internal22HipKernelLauncherFixedILi1024ENS0_8LoopDataIN4camp5tupleIJNS_4SpanINS_9Iterators16numeric_iteratorIiiPiEEiEESA_EEENS4_IJEEENS3_9resources2v13HipEJZ4mainEUliiE0_EEENS0_24HipStatementListExecutorISH_NS3_4listIJNS_9statement3ForILl1ENS_6policy3hip11hip_indexerINS_17iteration_mapping11StridedLoopILm0EEELNS_23kernel_sync_requirementE0EJNS_3hip11IndexGlobalILNS_9named_dimE0ELin1ELi0EEEEEEJNSL_ILl0ENSO_ISR_LSS_0EJNSU_ILSV_0ELi0ELin1EEEEEEJNSK_6LambdaILl0EJEEEEEEEEEEEENS0_9LoopTypesINSJ_IJvvEEES16_EEEEEEvT0_,comdat
.Lfunc_end1:
	.size	_ZN4RAJA8internal22HipKernelLauncherFixedILi1024ENS0_8LoopDataIN4camp5tupleIJNS_4SpanINS_9Iterators16numeric_iteratorIiiPiEEiEESA_EEENS4_IJEEENS3_9resources2v13HipEJZ4mainEUliiE0_EEENS0_24HipStatementListExecutorISH_NS3_4listIJNS_9statement3ForILl1ENS_6policy3hip11hip_indexerINS_17iteration_mapping11StridedLoopILm0EEELNS_23kernel_sync_requirementE0EJNS_3hip11IndexGlobalILNS_9named_dimE0ELin1ELi0EEEEEEJNSL_ILl0ENSO_ISR_LSS_0EJNSU_ILSV_0ELi0ELin1EEEEEEJNSK_6LambdaILl0EJEEEEEEEEEEEENS0_9LoopTypesINSJ_IJvvEEES16_EEEEEEvT0_, .Lfunc_end1-_ZN4RAJA8internal22HipKernelLauncherFixedILi1024ENS0_8LoopDataIN4camp5tupleIJNS_4SpanINS_9Iterators16numeric_iteratorIiiPiEEiEESA_EEENS4_IJEEENS3_9resources2v13HipEJZ4mainEUliiE0_EEENS0_24HipStatementListExecutorISH_NS3_4listIJNS_9statement3ForILl1ENS_6policy3hip11hip_indexerINS_17iteration_mapping11StridedLoopILm0EEELNS_23kernel_sync_requirementE0EJNS_3hip11IndexGlobalILNS_9named_dimE0ELin1ELi0EEEEEEJNSL_ILl0ENSO_ISR_LSS_0EJNSU_ILSV_0ELi0ELin1EEEEEEJNSK_6LambdaILl0EJEEEEEEEEEEEENS0_9LoopTypesINSJ_IJvvEEES16_EEEEEEvT0_
                                        ; -- End function
	.set _ZN4RAJA8internal22HipKernelLauncherFixedILi1024ENS0_8LoopDataIN4camp5tupleIJNS_4SpanINS_9Iterators16numeric_iteratorIiiPiEEiEESA_EEENS4_IJEEENS3_9resources2v13HipEJZ4mainEUliiE0_EEENS0_24HipStatementListExecutorISH_NS3_4listIJNS_9statement3ForILl1ENS_6policy3hip11hip_indexerINS_17iteration_mapping11StridedLoopILm0EEELNS_23kernel_sync_requirementE0EJNS_3hip11IndexGlobalILNS_9named_dimE0ELin1ELi0EEEEEEJNSL_ILl0ENSO_ISR_LSS_0EJNSU_ILSV_0ELi0ELin1EEEEEEJNSK_6LambdaILl0EJEEEEEEEEEEEENS0_9LoopTypesINSJ_IJvvEEES16_EEEEEEvT0_.num_vgpr, 35
	.set _ZN4RAJA8internal22HipKernelLauncherFixedILi1024ENS0_8LoopDataIN4camp5tupleIJNS_4SpanINS_9Iterators16numeric_iteratorIiiPiEEiEESA_EEENS4_IJEEENS3_9resources2v13HipEJZ4mainEUliiE0_EEENS0_24HipStatementListExecutorISH_NS3_4listIJNS_9statement3ForILl1ENS_6policy3hip11hip_indexerINS_17iteration_mapping11StridedLoopILm0EEELNS_23kernel_sync_requirementE0EJNS_3hip11IndexGlobalILNS_9named_dimE0ELin1ELi0EEEEEEJNSL_ILl0ENSO_ISR_LSS_0EJNSU_ILSV_0ELi0ELin1EEEEEEJNSK_6LambdaILl0EJEEEEEEEEEEEENS0_9LoopTypesINSJ_IJvvEEES16_EEEEEEvT0_.num_agpr, 0
	.set _ZN4RAJA8internal22HipKernelLauncherFixedILi1024ENS0_8LoopDataIN4camp5tupleIJNS_4SpanINS_9Iterators16numeric_iteratorIiiPiEEiEESA_EEENS4_IJEEENS3_9resources2v13HipEJZ4mainEUliiE0_EEENS0_24HipStatementListExecutorISH_NS3_4listIJNS_9statement3ForILl1ENS_6policy3hip11hip_indexerINS_17iteration_mapping11StridedLoopILm0EEELNS_23kernel_sync_requirementE0EJNS_3hip11IndexGlobalILNS_9named_dimE0ELin1ELi0EEEEEEJNSL_ILl0ENSO_ISR_LSS_0EJNSU_ILSV_0ELi0ELin1EEEEEEJNSK_6LambdaILl0EJEEEEEEEEEEEENS0_9LoopTypesINSJ_IJvvEEES16_EEEEEEvT0_.numbered_sgpr, 46
	.set _ZN4RAJA8internal22HipKernelLauncherFixedILi1024ENS0_8LoopDataIN4camp5tupleIJNS_4SpanINS_9Iterators16numeric_iteratorIiiPiEEiEESA_EEENS4_IJEEENS3_9resources2v13HipEJZ4mainEUliiE0_EEENS0_24HipStatementListExecutorISH_NS3_4listIJNS_9statement3ForILl1ENS_6policy3hip11hip_indexerINS_17iteration_mapping11StridedLoopILm0EEELNS_23kernel_sync_requirementE0EJNS_3hip11IndexGlobalILNS_9named_dimE0ELin1ELi0EEEEEEJNSL_ILl0ENSO_ISR_LSS_0EJNSU_ILSV_0ELi0ELin1EEEEEEJNSK_6LambdaILl0EJEEEEEEEEEEEENS0_9LoopTypesINSJ_IJvvEEES16_EEEEEEvT0_.num_named_barrier, 0
	.set _ZN4RAJA8internal22HipKernelLauncherFixedILi1024ENS0_8LoopDataIN4camp5tupleIJNS_4SpanINS_9Iterators16numeric_iteratorIiiPiEEiEESA_EEENS4_IJEEENS3_9resources2v13HipEJZ4mainEUliiE0_EEENS0_24HipStatementListExecutorISH_NS3_4listIJNS_9statement3ForILl1ENS_6policy3hip11hip_indexerINS_17iteration_mapping11StridedLoopILm0EEELNS_23kernel_sync_requirementE0EJNS_3hip11IndexGlobalILNS_9named_dimE0ELin1ELi0EEEEEEJNSL_ILl0ENSO_ISR_LSS_0EJNSU_ILSV_0ELi0ELin1EEEEEEJNSK_6LambdaILl0EJEEEEEEEEEEEENS0_9LoopTypesINSJ_IJvvEEES16_EEEEEEvT0_.private_seg_size, 0
	.set _ZN4RAJA8internal22HipKernelLauncherFixedILi1024ENS0_8LoopDataIN4camp5tupleIJNS_4SpanINS_9Iterators16numeric_iteratorIiiPiEEiEESA_EEENS4_IJEEENS3_9resources2v13HipEJZ4mainEUliiE0_EEENS0_24HipStatementListExecutorISH_NS3_4listIJNS_9statement3ForILl1ENS_6policy3hip11hip_indexerINS_17iteration_mapping11StridedLoopILm0EEELNS_23kernel_sync_requirementE0EJNS_3hip11IndexGlobalILNS_9named_dimE0ELin1ELi0EEEEEEJNSL_ILl0ENSO_ISR_LSS_0EJNSU_ILSV_0ELi0ELin1EEEEEEJNSK_6LambdaILl0EJEEEEEEEEEEEENS0_9LoopTypesINSJ_IJvvEEES16_EEEEEEvT0_.uses_vcc, 1
	.set _ZN4RAJA8internal22HipKernelLauncherFixedILi1024ENS0_8LoopDataIN4camp5tupleIJNS_4SpanINS_9Iterators16numeric_iteratorIiiPiEEiEESA_EEENS4_IJEEENS3_9resources2v13HipEJZ4mainEUliiE0_EEENS0_24HipStatementListExecutorISH_NS3_4listIJNS_9statement3ForILl1ENS_6policy3hip11hip_indexerINS_17iteration_mapping11StridedLoopILm0EEELNS_23kernel_sync_requirementE0EJNS_3hip11IndexGlobalILNS_9named_dimE0ELin1ELi0EEEEEEJNSL_ILl0ENSO_ISR_LSS_0EJNSU_ILSV_0ELi0ELin1EEEEEEJNSK_6LambdaILl0EJEEEEEEEEEEEENS0_9LoopTypesINSJ_IJvvEEES16_EEEEEEvT0_.uses_flat_scratch, 0
	.set _ZN4RAJA8internal22HipKernelLauncherFixedILi1024ENS0_8LoopDataIN4camp5tupleIJNS_4SpanINS_9Iterators16numeric_iteratorIiiPiEEiEESA_EEENS4_IJEEENS3_9resources2v13HipEJZ4mainEUliiE0_EEENS0_24HipStatementListExecutorISH_NS3_4listIJNS_9statement3ForILl1ENS_6policy3hip11hip_indexerINS_17iteration_mapping11StridedLoopILm0EEELNS_23kernel_sync_requirementE0EJNS_3hip11IndexGlobalILNS_9named_dimE0ELin1ELi0EEEEEEJNSL_ILl0ENSO_ISR_LSS_0EJNSU_ILSV_0ELi0ELin1EEEEEEJNSK_6LambdaILl0EJEEEEEEEEEEEENS0_9LoopTypesINSJ_IJvvEEES16_EEEEEEvT0_.has_dyn_sized_stack, 0
	.set _ZN4RAJA8internal22HipKernelLauncherFixedILi1024ENS0_8LoopDataIN4camp5tupleIJNS_4SpanINS_9Iterators16numeric_iteratorIiiPiEEiEESA_EEENS4_IJEEENS3_9resources2v13HipEJZ4mainEUliiE0_EEENS0_24HipStatementListExecutorISH_NS3_4listIJNS_9statement3ForILl1ENS_6policy3hip11hip_indexerINS_17iteration_mapping11StridedLoopILm0EEELNS_23kernel_sync_requirementE0EJNS_3hip11IndexGlobalILNS_9named_dimE0ELin1ELi0EEEEEEJNSL_ILl0ENSO_ISR_LSS_0EJNSU_ILSV_0ELi0ELin1EEEEEEJNSK_6LambdaILl0EJEEEEEEEEEEEENS0_9LoopTypesINSJ_IJvvEEES16_EEEEEEvT0_.has_recursion, 0
	.set _ZN4RAJA8internal22HipKernelLauncherFixedILi1024ENS0_8LoopDataIN4camp5tupleIJNS_4SpanINS_9Iterators16numeric_iteratorIiiPiEEiEESA_EEENS4_IJEEENS3_9resources2v13HipEJZ4mainEUliiE0_EEENS0_24HipStatementListExecutorISH_NS3_4listIJNS_9statement3ForILl1ENS_6policy3hip11hip_indexerINS_17iteration_mapping11StridedLoopILm0EEELNS_23kernel_sync_requirementE0EJNS_3hip11IndexGlobalILNS_9named_dimE0ELin1ELi0EEEEEEJNSL_ILl0ENSO_ISR_LSS_0EJNSU_ILSV_0ELi0ELin1EEEEEEJNSK_6LambdaILl0EJEEEEEEEEEEEENS0_9LoopTypesINSJ_IJvvEEES16_EEEEEEvT0_.has_indirect_call, 0
	.section	.AMDGPU.csdata,"",@progbits
; Kernel info:
; codeLenInByte = 828
; TotalNumSgprs: 50
; NumVgprs: 35
; ScratchSize: 0
; MemoryBound: 1
; FloatMode: 240
; IeeeMode: 1
; LDSByteSize: 0 bytes/workgroup (compile time only)
; SGPRBlocks: 6
; VGPRBlocks: 8
; NumSGPRsForWavesPerEU: 50
; NumVGPRsForWavesPerEU: 35
; Occupancy: 7
; WaveLimiterHint : 0
; COMPUTE_PGM_RSRC2:SCRATCH_EN: 0
; COMPUTE_PGM_RSRC2:USER_SGPR: 6
; COMPUTE_PGM_RSRC2:TRAP_HANDLER: 0
; COMPUTE_PGM_RSRC2:TGID_X_EN: 1
; COMPUTE_PGM_RSRC2:TGID_Y_EN: 0
; COMPUTE_PGM_RSRC2:TGID_Z_EN: 0
; COMPUTE_PGM_RSRC2:TIDIG_COMP_CNT: 0
	.section	.text._ZN4RAJA8internal22HipKernelLauncherFixedILi1024ENS0_8LoopDataIN4camp5tupleIJNS_4SpanINS_9Iterators16numeric_iteratorIiiPiEEiEESA_EEENS4_IJEEENS3_9resources2v13HipEJZ4mainEUliiE1_EEENS0_24HipStatementListExecutorISH_NS3_4listIJNS_9statement4TileILl1ENS_10tile_fixedILl16EEENS_6policy3hip11hip_indexerINS_17iteration_mapping11StridedLoopILm0EEELNS_23kernel_sync_requirementE0EJNS_3hip11IndexGlobalILNS_9named_dimE1ELin1ELi0EEEEEEJNSL_ILl0ESN_NSQ_IST_LSU_0EJNSW_ILSX_0ELin1ELi0EEEEEEJNSK_3ForILl1ENSQ_IST_LSU_0EJNSW_ILSX_1ELi0ELin1EEEEEEJNS12_ILl0ENSQ_IST_LSU_0EJNSW_ILSX_0ELi0ELin1EEEEEEJNSK_6LambdaILl0EJEEEEEEEEEEEEEEEEEENS0_9LoopTypesINSJ_IJvvEEES1F_EEEEEEvT0_,"axG",@progbits,_ZN4RAJA8internal22HipKernelLauncherFixedILi1024ENS0_8LoopDataIN4camp5tupleIJNS_4SpanINS_9Iterators16numeric_iteratorIiiPiEEiEESA_EEENS4_IJEEENS3_9resources2v13HipEJZ4mainEUliiE1_EEENS0_24HipStatementListExecutorISH_NS3_4listIJNS_9statement4TileILl1ENS_10tile_fixedILl16EEENS_6policy3hip11hip_indexerINS_17iteration_mapping11StridedLoopILm0EEELNS_23kernel_sync_requirementE0EJNS_3hip11IndexGlobalILNS_9named_dimE1ELin1ELi0EEEEEEJNSL_ILl0ESN_NSQ_IST_LSU_0EJNSW_ILSX_0ELin1ELi0EEEEEEJNSK_3ForILl1ENSQ_IST_LSU_0EJNSW_ILSX_1ELi0ELin1EEEEEEJNS12_ILl0ENSQ_IST_LSU_0EJNSW_ILSX_0ELi0ELin1EEEEEEJNSK_6LambdaILl0EJEEEEEEEEEEEEEEEEEENS0_9LoopTypesINSJ_IJvvEEES1F_EEEEEEvT0_,comdat
	.globl	_ZN4RAJA8internal22HipKernelLauncherFixedILi1024ENS0_8LoopDataIN4camp5tupleIJNS_4SpanINS_9Iterators16numeric_iteratorIiiPiEEiEESA_EEENS4_IJEEENS3_9resources2v13HipEJZ4mainEUliiE1_EEENS0_24HipStatementListExecutorISH_NS3_4listIJNS_9statement4TileILl1ENS_10tile_fixedILl16EEENS_6policy3hip11hip_indexerINS_17iteration_mapping11StridedLoopILm0EEELNS_23kernel_sync_requirementE0EJNS_3hip11IndexGlobalILNS_9named_dimE1ELin1ELi0EEEEEEJNSL_ILl0ESN_NSQ_IST_LSU_0EJNSW_ILSX_0ELin1ELi0EEEEEEJNSK_3ForILl1ENSQ_IST_LSU_0EJNSW_ILSX_1ELi0ELin1EEEEEEJNS12_ILl0ENSQ_IST_LSU_0EJNSW_ILSX_0ELi0ELin1EEEEEEJNSK_6LambdaILl0EJEEEEEEEEEEEEEEEEEENS0_9LoopTypesINSJ_IJvvEEES1F_EEEEEEvT0_ ; -- Begin function _ZN4RAJA8internal22HipKernelLauncherFixedILi1024ENS0_8LoopDataIN4camp5tupleIJNS_4SpanINS_9Iterators16numeric_iteratorIiiPiEEiEESA_EEENS4_IJEEENS3_9resources2v13HipEJZ4mainEUliiE1_EEENS0_24HipStatementListExecutorISH_NS3_4listIJNS_9statement4TileILl1ENS_10tile_fixedILl16EEENS_6policy3hip11hip_indexerINS_17iteration_mapping11StridedLoopILm0EEELNS_23kernel_sync_requirementE0EJNS_3hip11IndexGlobalILNS_9named_dimE1ELin1ELi0EEEEEEJNSL_ILl0ESN_NSQ_IST_LSU_0EJNSW_ILSX_0ELin1ELi0EEEEEEJNSK_3ForILl1ENSQ_IST_LSU_0EJNSW_ILSX_1ELi0ELin1EEEEEEJNS12_ILl0ENSQ_IST_LSU_0EJNSW_ILSX_0ELi0ELin1EEEEEEJNSK_6LambdaILl0EJEEEEEEEEEEEEEEEEEENS0_9LoopTypesINSJ_IJvvEEES1F_EEEEEEvT0_
	.p2align	8
	.type	_ZN4RAJA8internal22HipKernelLauncherFixedILi1024ENS0_8LoopDataIN4camp5tupleIJNS_4SpanINS_9Iterators16numeric_iteratorIiiPiEEiEESA_EEENS4_IJEEENS3_9resources2v13HipEJZ4mainEUliiE1_EEENS0_24HipStatementListExecutorISH_NS3_4listIJNS_9statement4TileILl1ENS_10tile_fixedILl16EEENS_6policy3hip11hip_indexerINS_17iteration_mapping11StridedLoopILm0EEELNS_23kernel_sync_requirementE0EJNS_3hip11IndexGlobalILNS_9named_dimE1ELin1ELi0EEEEEEJNSL_ILl0ESN_NSQ_IST_LSU_0EJNSW_ILSX_0ELin1ELi0EEEEEEJNSK_3ForILl1ENSQ_IST_LSU_0EJNSW_ILSX_1ELi0ELin1EEEEEEJNS12_ILl0ENSQ_IST_LSU_0EJNSW_ILSX_0ELi0ELin1EEEEEEJNSK_6LambdaILl0EJEEEEEEEEEEEEEEEEEENS0_9LoopTypesINSJ_IJvvEEES1F_EEEEEEvT0_,@function
_ZN4RAJA8internal22HipKernelLauncherFixedILi1024ENS0_8LoopDataIN4camp5tupleIJNS_4SpanINS_9Iterators16numeric_iteratorIiiPiEEiEESA_EEENS4_IJEEENS3_9resources2v13HipEJZ4mainEUliiE1_EEENS0_24HipStatementListExecutorISH_NS3_4listIJNS_9statement4TileILl1ENS_10tile_fixedILl16EEENS_6policy3hip11hip_indexerINS_17iteration_mapping11StridedLoopILm0EEELNS_23kernel_sync_requirementE0EJNS_3hip11IndexGlobalILNS_9named_dimE1ELin1ELi0EEEEEEJNSL_ILl0ESN_NSQ_IST_LSU_0EJNSW_ILSX_0ELin1ELi0EEEEEEJNSK_3ForILl1ENSQ_IST_LSU_0EJNSW_ILSX_1ELi0ELin1EEEEEEJNS12_ILl0ENSQ_IST_LSU_0EJNSW_ILSX_0ELi0ELin1EEEEEEJNSK_6LambdaILl0EJEEEEEEEEEEEEEEEEEENS0_9LoopTypesINSJ_IJvvEEES1F_EEEEEEvT0_: ; @_ZN4RAJA8internal22HipKernelLauncherFixedILi1024ENS0_8LoopDataIN4camp5tupleIJNS_4SpanINS_9Iterators16numeric_iteratorIiiPiEEiEESA_EEENS4_IJEEENS3_9resources2v13HipEJZ4mainEUliiE1_EEENS0_24HipStatementListExecutorISH_NS3_4listIJNS_9statement4TileILl1ENS_10tile_fixedILl16EEENS_6policy3hip11hip_indexerINS_17iteration_mapping11StridedLoopILm0EEELNS_23kernel_sync_requirementE0EJNS_3hip11IndexGlobalILNS_9named_dimE1ELin1ELi0EEEEEEJNSL_ILl0ESN_NSQ_IST_LSU_0EJNSW_ILSX_0ELin1ELi0EEEEEEJNSK_3ForILl1ENSQ_IST_LSU_0EJNSW_ILSX_1ELi0ELin1EEEEEEJNS12_ILl0ENSQ_IST_LSU_0EJNSW_ILSX_0ELi0ELin1EEEEEEJNSK_6LambdaILl0EJEEEEEEEEEEEEEEEEEENS0_9LoopTypesINSJ_IJvvEEES1F_EEEEEEvT0_
; %bb.0:
	s_load_dwordx2 s[16:17], s[4:5], 0x8
	s_lshl_b32 s56, s7, 4
	s_waitcnt lgkmcnt(0)
	s_sub_i32 s33, s17, s16
	s_cmp_ge_i32 s56, s33
	s_cbranch_scc1 .LBB2_14
; %bb.1:
	s_load_dwordx4 s[0:3], s[4:5], 0x40
	s_load_dwordx2 s[18:19], s[4:5], 0x70
	s_load_dwordx4 s[12:15], s[4:5], 0xd0
	s_load_dwordx2 s[28:29], s[4:5], 0x110
	;; [unrolled: 2-line block ×3, first 2 shown]
	s_add_u32 s22, s4, 0x110
	s_load_dwordx2 s[24:25], s[4:5], 0x28
	s_load_dwordx2 s[26:27], s[4:5], 0x0
	s_addc_u32 s23, s5, 0
	s_waitcnt lgkmcnt(0)
	s_lshl_b32 s57, s29, 4
	s_lshl_b32 s58, s6, 4
	s_lshl_b32 s59, s28, 4
	s_cmp_lt_u32 s6, s28
	s_cselect_b32 s4, 12, 18
	s_add_u32 s28, s22, s4
	s_addc_u32 s29, s23, 0
	s_sub_i32 s60, s27, s26
	s_cmp_lt_i32 s58, s60
	s_mul_i32 s6, s9, 24
	s_mul_hi_u32 s7, s8, 24
	s_cselect_b64 s[4:5], -1, 0
	s_add_i32 s61, s7, s6
	s_add_i32 s6, s26, s58
	v_add_u32_e32 v14, s6, v0
	s_mul_i32 s6, s3, 24
	s_mul_hi_u32 s7, s2, 24
	s_lshl_b64 s[36:37], s[0:1], 3
	s_add_i32 s0, s16, s56
	v_cndmask_b32_e64 v2, 0, 1, s[4:5]
	s_mul_i32 s62, s8, 24
	s_lshl_b64 s[30:31], s[10:11], 3
	s_lshl_b64 s[34:35], s[8:9], 5
	s_add_i32 s63, s7, s6
	s_mul_i32 s64, s2, 24
	v_add_u32_e32 v15, s0, v1
	s_lshl_b64 s[38:39], s[2:3], 5
	s_lshl_b64 s[40:41], s[8:9], 4
	;; [unrolled: 1-line block ×5, first 2 shown]
	v_cmp_ne_u32_e64 s[0:1], 1, v2
	v_mov_b32_e32 v16, 0
	s_branch .LBB2_3
.LBB2_2:                                ;   in Loop: Header=BB2_3 Depth=1
	s_add_i32 s56, s56, s57
	s_cmp_lt_i32 s56, s33
	v_add_u32_e32 v15, s57, v15
	s_cbranch_scc0 .LBB2_14
.LBB2_3:                                ; =>This Loop Header: Depth=1
                                        ;     Child Loop BB2_6 Depth 2
                                        ;       Child Loop BB2_9 Depth 3
                                        ;         Child Loop BB2_11 Depth 4
                                        ;           Child Loop BB2_12 Depth 5
	s_and_b64 vcc, exec, s[0:1]
	s_cbranch_vccnz .LBB2_2
; %bb.4:                                ;   in Loop: Header=BB2_3 Depth=1
	s_load_dword s2, s[22:23], 0xc
	s_add_i32 s65, s56, s16
	s_add_i32 s3, s65, 16
	s_min_i32 s3, s3, s17
	s_sub_i32 s66, s3, s65
	s_waitcnt lgkmcnt(0)
	s_lshr_b32 s67, s2, 16
	v_cmp_gt_i32_e32 vcc, s66, v1
	v_mov_b32_e32 v17, v14
	s_mov_b32 s68, s58
	s_branch .LBB2_6
.LBB2_5:                                ;   in Loop: Header=BB2_6 Depth=2
	s_or_b64 exec, exec, s[48:49]
	s_add_i32 s68, s68, s59
	s_cmp_lt_i32 s68, s60
	v_add_u32_e32 v17, s59, v17
	s_cbranch_scc0 .LBB2_2
.LBB2_6:                                ;   Parent Loop BB2_3 Depth=1
                                        ; =>  This Loop Header: Depth=2
                                        ;       Child Loop BB2_9 Depth 3
                                        ;         Child Loop BB2_11 Depth 4
                                        ;           Child Loop BB2_12 Depth 5
	s_and_saveexec_b64 s[48:49], vcc
	s_cbranch_execz .LBB2_5
; %bb.7:                                ;   in Loop: Header=BB2_6 Depth=2
	global_load_ushort v18, v16, s[28:29]
	v_mov_b32_e32 v2, s18
	v_ashrrev_i32_e32 v4, 31, v17
	v_mov_b32_e32 v3, s19
	v_mul_lo_u32 v5, s31, v17
	s_add_i32 s69, s68, s26
	v_mad_u64_u32 v[2:3], s[2:3], s30, v17, v[2:3]
	v_mul_lo_u32 v4, s30, v4
	s_add_i32 s2, s69, 16
	s_min_i32 s2, s2, s27
	s_sub_i32 s70, s2, s69
	s_mov_b64 s[50:51], 0
	v_mov_b32_e32 v19, v15
	v_cmp_gt_i32_e64 s[2:3], s70, v0
	v_add3_u32 v3, v5, v3, v4
	v_mov_b32_e32 v22, v1
	s_waitcnt vmcnt(0)
	v_mul_lo_u32 v6, s31, v18
	v_mul_hi_u32 v7, s30, v18
	v_mul_lo_u32 v20, s30, v18
	v_add_u32_e32 v21, v7, v6
	s_branch .LBB2_9
.LBB2_8:                                ;   in Loop: Header=BB2_9 Depth=3
	s_or_b64 exec, exec, s[52:53]
	v_add_u32_e32 v22, s67, v22
	v_cmp_le_i32_e64 s[4:5], s66, v22
	s_or_b64 s[50:51], s[4:5], s[50:51]
	v_add_u32_e32 v19, s67, v19
	s_andn2_b64 exec, exec, s[50:51]
	s_cbranch_execz .LBB2_5
.LBB2_9:                                ;   Parent Loop BB2_3 Depth=1
                                        ;     Parent Loop BB2_6 Depth=2
                                        ; =>    This Loop Header: Depth=3
                                        ;         Child Loop BB2_11 Depth 4
                                        ;           Child Loop BB2_12 Depth 5
	s_and_saveexec_b64 s[52:53], s[2:3]
	s_cbranch_execz .LBB2_8
; %bb.10:                               ;   in Loop: Header=BB2_9 Depth=3
	v_ashrrev_i32_e32 v6, 31, v19
	v_mul_lo_u32 v9, s36, v6
	v_add_u32_e32 v6, s65, v22
	v_ashrrev_i32_e32 v7, 31, v6
	v_mul_lo_u32 v10, s12, v7
	v_mul_lo_u32 v11, s13, v6
	v_mad_u64_u32 v[6:7], s[4:5], s12, v6, 0
	v_mov_b32_e32 v4, s24
	v_mov_b32_e32 v5, s25
	v_mad_u64_u32 v[4:5], s[4:5], s36, v19, v[4:5]
	v_mul_lo_u32 v8, s37, v19
	v_add3_u32 v7, v7, v10, v11
	v_lshlrev_b64 v[6:7], 3, v[6:7]
	s_mov_b64 s[54:55], 0
	v_add3_u32 v5, v8, v5, v9
	v_mov_b32_e32 v8, s21
	v_add_co_u32_e64 v23, s[4:5], s20, v6
	v_addc_co_u32_e64 v24, s[4:5], v8, v7, s[4:5]
	v_mov_b32_e32 v7, v3
	v_mov_b32_e32 v6, v2
	;; [unrolled: 1-line block ×3, first 2 shown]
.LBB2_11:                               ;   Parent Loop BB2_3 Depth=1
                                        ;     Parent Loop BB2_6 Depth=2
                                        ;       Parent Loop BB2_9 Depth=3
                                        ; =>      This Loop Header: Depth=4
                                        ;           Child Loop BB2_12 Depth 5
	v_mov_b32_e32 v8, 0
	v_mov_b32_e32 v11, v5
	;; [unrolled: 1-line block ×4, first 2 shown]
	s_movk_i32 s71, 0x3e8
	v_mov_b32_e32 v10, v4
	v_mov_b32_e32 v12, v6
.LBB2_12:                               ;   Parent Loop BB2_3 Depth=1
                                        ;     Parent Loop BB2_6 Depth=2
                                        ;       Parent Loop BB2_9 Depth=3
                                        ;         Parent Loop BB2_11 Depth=4
                                        ; =>        This Inner Loop Header: Depth=5
	global_load_dwordx2 v[26:27], v[10:11], off
	global_load_dwordx2 v[28:29], v[12:13], off
	v_mov_b32_e32 v31, s47
	v_mov_b32_e32 v33, s45
	v_add_co_u32_e64 v30, s[4:5], s44, v12
	v_add_co_u32_e64 v35, s[10:11], s46, v10
	v_addc_co_u32_e64 v36, s[10:11], v11, v31, s[10:11]
	v_addc_co_u32_e64 v31, s[4:5], v13, v33, s[4:5]
	global_load_dwordx2 v[36:37], v[35:36], off
	s_nop 0
	global_load_dwordx2 v[30:31], v[30:31], off
	v_mov_b32_e32 v39, s43
	v_mov_b32_e32 v40, s41
	v_add_co_u32_e64 v32, s[6:7], s40, v12
	v_add_co_u32_e64 v38, s[4:5], s42, v10
	v_addc_co_u32_e64 v39, s[4:5], v11, v39, s[4:5]
	v_addc_co_u32_e64 v33, s[4:5], v13, v40, s[6:7]
	global_load_dwordx2 v[38:39], v[38:39], off
	s_nop 0
	;; [unrolled: 9-line block ×3, first 2 shown]
	global_load_dwordx2 v[34:35], v[34:35], off
	v_add_co_u32_e64 v10, s[4:5], s38, v10
	s_add_i32 s71, s71, -4
	v_add_co_u32_e64 v12, s[6:7], s34, v12
	s_cmp_lg_u32 s71, 0
	s_waitcnt vmcnt(6)
	v_fma_f64 v[8:9], v[26:27], v[28:29], v[8:9]
	v_mov_b32_e32 v26, s35
	v_mov_b32_e32 v27, s39
	v_addc_co_u32_e64 v13, s[6:7], v13, v26, s[6:7]
	v_addc_co_u32_e64 v11, s[4:5], v11, v27, s[4:5]
	s_waitcnt vmcnt(4)
	v_fma_f64 v[8:9], v[36:37], v[30:31], v[8:9]
	s_waitcnt vmcnt(2)
	v_fma_f64 v[8:9], v[38:39], v[32:33], v[8:9]
	;; [unrolled: 2-line block ×3, first 2 shown]
	s_cbranch_scc1 .LBB2_12
; %bb.13:                               ;   in Loop: Header=BB2_11 Depth=4
	v_add_u32_e32 v10, s69, v25
	v_ashrrev_i32_e32 v12, 31, v10
	v_mul_lo_u32 v13, s15, v10
	v_mad_u64_u32 v[10:11], s[4:5], s14, v10, 0
	v_mul_lo_u32 v12, s14, v12
	v_add_u32_e32 v25, v25, v18
	v_add3_u32 v11, v11, v12, v13
	v_lshlrev_b64 v[10:11], 3, v[10:11]
	v_add_co_u32_e64 v10, s[4:5], v23, v10
	v_addc_co_u32_e64 v11, s[4:5], v24, v11, s[4:5]
	v_cmp_le_i32_e64 s[4:5], s70, v25
	s_or_b64 s[54:55], s[4:5], s[54:55]
	v_add_co_u32_e64 v6, s[4:5], v6, v20
	v_addc_co_u32_e64 v7, s[4:5], v7, v21, s[4:5]
	global_store_dwordx2 v[10:11], v[8:9], off
	s_andn2_b64 exec, exec, s[54:55]
	s_cbranch_execnz .LBB2_11
	s_branch .LBB2_8
.LBB2_14:
	s_endpgm
	.section	.rodata,"a",@progbits
	.p2align	6, 0x0
	.amdhsa_kernel _ZN4RAJA8internal22HipKernelLauncherFixedILi1024ENS0_8LoopDataIN4camp5tupleIJNS_4SpanINS_9Iterators16numeric_iteratorIiiPiEEiEESA_EEENS4_IJEEENS3_9resources2v13HipEJZ4mainEUliiE1_EEENS0_24HipStatementListExecutorISH_NS3_4listIJNS_9statement4TileILl1ENS_10tile_fixedILl16EEENS_6policy3hip11hip_indexerINS_17iteration_mapping11StridedLoopILm0EEELNS_23kernel_sync_requirementE0EJNS_3hip11IndexGlobalILNS_9named_dimE1ELin1ELi0EEEEEEJNSL_ILl0ESN_NSQ_IST_LSU_0EJNSW_ILSX_0ELin1ELi0EEEEEEJNSK_3ForILl1ENSQ_IST_LSU_0EJNSW_ILSX_1ELi0ELin1EEEEEEJNS12_ILl0ENSQ_IST_LSU_0EJNSW_ILSX_0ELi0ELin1EEEEEEJNSK_6LambdaILl0EJEEEEEEEEEEEEEEEEEENS0_9LoopTypesINSJ_IJvvEEES1F_EEEEEEvT0_
		.amdhsa_group_segment_fixed_size 0
		.amdhsa_private_segment_fixed_size 0
		.amdhsa_kernarg_size 528
		.amdhsa_user_sgpr_count 6
		.amdhsa_user_sgpr_private_segment_buffer 1
		.amdhsa_user_sgpr_dispatch_ptr 0
		.amdhsa_user_sgpr_queue_ptr 0
		.amdhsa_user_sgpr_kernarg_segment_ptr 1
		.amdhsa_user_sgpr_dispatch_id 0
		.amdhsa_user_sgpr_flat_scratch_init 0
		.amdhsa_user_sgpr_private_segment_size 0
		.amdhsa_uses_dynamic_stack 0
		.amdhsa_system_sgpr_private_segment_wavefront_offset 0
		.amdhsa_system_sgpr_workgroup_id_x 1
		.amdhsa_system_sgpr_workgroup_id_y 1
		.amdhsa_system_sgpr_workgroup_id_z 0
		.amdhsa_system_sgpr_workgroup_info 0
		.amdhsa_system_vgpr_workitem_id 1
		.amdhsa_next_free_vgpr 43
		.amdhsa_next_free_sgpr 72
		.amdhsa_reserve_vcc 1
		.amdhsa_reserve_flat_scratch 0
		.amdhsa_float_round_mode_32 0
		.amdhsa_float_round_mode_16_64 0
		.amdhsa_float_denorm_mode_32 3
		.amdhsa_float_denorm_mode_16_64 3
		.amdhsa_dx10_clamp 1
		.amdhsa_ieee_mode 1
		.amdhsa_fp16_overflow 0
		.amdhsa_exception_fp_ieee_invalid_op 0
		.amdhsa_exception_fp_denorm_src 0
		.amdhsa_exception_fp_ieee_div_zero 0
		.amdhsa_exception_fp_ieee_overflow 0
		.amdhsa_exception_fp_ieee_underflow 0
		.amdhsa_exception_fp_ieee_inexact 0
		.amdhsa_exception_int_div_zero 0
	.end_amdhsa_kernel
	.section	.text._ZN4RAJA8internal22HipKernelLauncherFixedILi1024ENS0_8LoopDataIN4camp5tupleIJNS_4SpanINS_9Iterators16numeric_iteratorIiiPiEEiEESA_EEENS4_IJEEENS3_9resources2v13HipEJZ4mainEUliiE1_EEENS0_24HipStatementListExecutorISH_NS3_4listIJNS_9statement4TileILl1ENS_10tile_fixedILl16EEENS_6policy3hip11hip_indexerINS_17iteration_mapping11StridedLoopILm0EEELNS_23kernel_sync_requirementE0EJNS_3hip11IndexGlobalILNS_9named_dimE1ELin1ELi0EEEEEEJNSL_ILl0ESN_NSQ_IST_LSU_0EJNSW_ILSX_0ELin1ELi0EEEEEEJNSK_3ForILl1ENSQ_IST_LSU_0EJNSW_ILSX_1ELi0ELin1EEEEEEJNS12_ILl0ENSQ_IST_LSU_0EJNSW_ILSX_0ELi0ELin1EEEEEEJNSK_6LambdaILl0EJEEEEEEEEEEEEEEEEEENS0_9LoopTypesINSJ_IJvvEEES1F_EEEEEEvT0_,"axG",@progbits,_ZN4RAJA8internal22HipKernelLauncherFixedILi1024ENS0_8LoopDataIN4camp5tupleIJNS_4SpanINS_9Iterators16numeric_iteratorIiiPiEEiEESA_EEENS4_IJEEENS3_9resources2v13HipEJZ4mainEUliiE1_EEENS0_24HipStatementListExecutorISH_NS3_4listIJNS_9statement4TileILl1ENS_10tile_fixedILl16EEENS_6policy3hip11hip_indexerINS_17iteration_mapping11StridedLoopILm0EEELNS_23kernel_sync_requirementE0EJNS_3hip11IndexGlobalILNS_9named_dimE1ELin1ELi0EEEEEEJNSL_ILl0ESN_NSQ_IST_LSU_0EJNSW_ILSX_0ELin1ELi0EEEEEEJNSK_3ForILl1ENSQ_IST_LSU_0EJNSW_ILSX_1ELi0ELin1EEEEEEJNS12_ILl0ENSQ_IST_LSU_0EJNSW_ILSX_0ELi0ELin1EEEEEEJNSK_6LambdaILl0EJEEEEEEEEEEEEEEEEEENS0_9LoopTypesINSJ_IJvvEEES1F_EEEEEEvT0_,comdat
.Lfunc_end2:
	.size	_ZN4RAJA8internal22HipKernelLauncherFixedILi1024ENS0_8LoopDataIN4camp5tupleIJNS_4SpanINS_9Iterators16numeric_iteratorIiiPiEEiEESA_EEENS4_IJEEENS3_9resources2v13HipEJZ4mainEUliiE1_EEENS0_24HipStatementListExecutorISH_NS3_4listIJNS_9statement4TileILl1ENS_10tile_fixedILl16EEENS_6policy3hip11hip_indexerINS_17iteration_mapping11StridedLoopILm0EEELNS_23kernel_sync_requirementE0EJNS_3hip11IndexGlobalILNS_9named_dimE1ELin1ELi0EEEEEEJNSL_ILl0ESN_NSQ_IST_LSU_0EJNSW_ILSX_0ELin1ELi0EEEEEEJNSK_3ForILl1ENSQ_IST_LSU_0EJNSW_ILSX_1ELi0ELin1EEEEEEJNS12_ILl0ENSQ_IST_LSU_0EJNSW_ILSX_0ELi0ELin1EEEEEEJNSK_6LambdaILl0EJEEEEEEEEEEEEEEEEEENS0_9LoopTypesINSJ_IJvvEEES1F_EEEEEEvT0_, .Lfunc_end2-_ZN4RAJA8internal22HipKernelLauncherFixedILi1024ENS0_8LoopDataIN4camp5tupleIJNS_4SpanINS_9Iterators16numeric_iteratorIiiPiEEiEESA_EEENS4_IJEEENS3_9resources2v13HipEJZ4mainEUliiE1_EEENS0_24HipStatementListExecutorISH_NS3_4listIJNS_9statement4TileILl1ENS_10tile_fixedILl16EEENS_6policy3hip11hip_indexerINS_17iteration_mapping11StridedLoopILm0EEELNS_23kernel_sync_requirementE0EJNS_3hip11IndexGlobalILNS_9named_dimE1ELin1ELi0EEEEEEJNSL_ILl0ESN_NSQ_IST_LSU_0EJNSW_ILSX_0ELin1ELi0EEEEEEJNSK_3ForILl1ENSQ_IST_LSU_0EJNSW_ILSX_1ELi0ELin1EEEEEEJNS12_ILl0ENSQ_IST_LSU_0EJNSW_ILSX_0ELi0ELin1EEEEEEJNSK_6LambdaILl0EJEEEEEEEEEEEEEEEEEENS0_9LoopTypesINSJ_IJvvEEES1F_EEEEEEvT0_
                                        ; -- End function
	.set _ZN4RAJA8internal22HipKernelLauncherFixedILi1024ENS0_8LoopDataIN4camp5tupleIJNS_4SpanINS_9Iterators16numeric_iteratorIiiPiEEiEESA_EEENS4_IJEEENS3_9resources2v13HipEJZ4mainEUliiE1_EEENS0_24HipStatementListExecutorISH_NS3_4listIJNS_9statement4TileILl1ENS_10tile_fixedILl16EEENS_6policy3hip11hip_indexerINS_17iteration_mapping11StridedLoopILm0EEELNS_23kernel_sync_requirementE0EJNS_3hip11IndexGlobalILNS_9named_dimE1ELin1ELi0EEEEEEJNSL_ILl0ESN_NSQ_IST_LSU_0EJNSW_ILSX_0ELin1ELi0EEEEEEJNSK_3ForILl1ENSQ_IST_LSU_0EJNSW_ILSX_1ELi0ELin1EEEEEEJNS12_ILl0ENSQ_IST_LSU_0EJNSW_ILSX_0ELi0ELin1EEEEEEJNSK_6LambdaILl0EJEEEEEEEEEEEEEEEEEENS0_9LoopTypesINSJ_IJvvEEES1F_EEEEEEvT0_.num_vgpr, 43
	.set _ZN4RAJA8internal22HipKernelLauncherFixedILi1024ENS0_8LoopDataIN4camp5tupleIJNS_4SpanINS_9Iterators16numeric_iteratorIiiPiEEiEESA_EEENS4_IJEEENS3_9resources2v13HipEJZ4mainEUliiE1_EEENS0_24HipStatementListExecutorISH_NS3_4listIJNS_9statement4TileILl1ENS_10tile_fixedILl16EEENS_6policy3hip11hip_indexerINS_17iteration_mapping11StridedLoopILm0EEELNS_23kernel_sync_requirementE0EJNS_3hip11IndexGlobalILNS_9named_dimE1ELin1ELi0EEEEEEJNSL_ILl0ESN_NSQ_IST_LSU_0EJNSW_ILSX_0ELin1ELi0EEEEEEJNSK_3ForILl1ENSQ_IST_LSU_0EJNSW_ILSX_1ELi0ELin1EEEEEEJNS12_ILl0ENSQ_IST_LSU_0EJNSW_ILSX_0ELi0ELin1EEEEEEJNSK_6LambdaILl0EJEEEEEEEEEEEEEEEEEENS0_9LoopTypesINSJ_IJvvEEES1F_EEEEEEvT0_.num_agpr, 0
	.set _ZN4RAJA8internal22HipKernelLauncherFixedILi1024ENS0_8LoopDataIN4camp5tupleIJNS_4SpanINS_9Iterators16numeric_iteratorIiiPiEEiEESA_EEENS4_IJEEENS3_9resources2v13HipEJZ4mainEUliiE1_EEENS0_24HipStatementListExecutorISH_NS3_4listIJNS_9statement4TileILl1ENS_10tile_fixedILl16EEENS_6policy3hip11hip_indexerINS_17iteration_mapping11StridedLoopILm0EEELNS_23kernel_sync_requirementE0EJNS_3hip11IndexGlobalILNS_9named_dimE1ELin1ELi0EEEEEEJNSL_ILl0ESN_NSQ_IST_LSU_0EJNSW_ILSX_0ELin1ELi0EEEEEEJNSK_3ForILl1ENSQ_IST_LSU_0EJNSW_ILSX_1ELi0ELin1EEEEEEJNS12_ILl0ENSQ_IST_LSU_0EJNSW_ILSX_0ELi0ELin1EEEEEEJNSK_6LambdaILl0EJEEEEEEEEEEEEEEEEEENS0_9LoopTypesINSJ_IJvvEEES1F_EEEEEEvT0_.numbered_sgpr, 72
	.set _ZN4RAJA8internal22HipKernelLauncherFixedILi1024ENS0_8LoopDataIN4camp5tupleIJNS_4SpanINS_9Iterators16numeric_iteratorIiiPiEEiEESA_EEENS4_IJEEENS3_9resources2v13HipEJZ4mainEUliiE1_EEENS0_24HipStatementListExecutorISH_NS3_4listIJNS_9statement4TileILl1ENS_10tile_fixedILl16EEENS_6policy3hip11hip_indexerINS_17iteration_mapping11StridedLoopILm0EEELNS_23kernel_sync_requirementE0EJNS_3hip11IndexGlobalILNS_9named_dimE1ELin1ELi0EEEEEEJNSL_ILl0ESN_NSQ_IST_LSU_0EJNSW_ILSX_0ELin1ELi0EEEEEEJNSK_3ForILl1ENSQ_IST_LSU_0EJNSW_ILSX_1ELi0ELin1EEEEEEJNS12_ILl0ENSQ_IST_LSU_0EJNSW_ILSX_0ELi0ELin1EEEEEEJNSK_6LambdaILl0EJEEEEEEEEEEEEEEEEEENS0_9LoopTypesINSJ_IJvvEEES1F_EEEEEEvT0_.num_named_barrier, 0
	.set _ZN4RAJA8internal22HipKernelLauncherFixedILi1024ENS0_8LoopDataIN4camp5tupleIJNS_4SpanINS_9Iterators16numeric_iteratorIiiPiEEiEESA_EEENS4_IJEEENS3_9resources2v13HipEJZ4mainEUliiE1_EEENS0_24HipStatementListExecutorISH_NS3_4listIJNS_9statement4TileILl1ENS_10tile_fixedILl16EEENS_6policy3hip11hip_indexerINS_17iteration_mapping11StridedLoopILm0EEELNS_23kernel_sync_requirementE0EJNS_3hip11IndexGlobalILNS_9named_dimE1ELin1ELi0EEEEEEJNSL_ILl0ESN_NSQ_IST_LSU_0EJNSW_ILSX_0ELin1ELi0EEEEEEJNSK_3ForILl1ENSQ_IST_LSU_0EJNSW_ILSX_1ELi0ELin1EEEEEEJNS12_ILl0ENSQ_IST_LSU_0EJNSW_ILSX_0ELi0ELin1EEEEEEJNSK_6LambdaILl0EJEEEEEEEEEEEEEEEEEENS0_9LoopTypesINSJ_IJvvEEES1F_EEEEEEvT0_.private_seg_size, 0
	.set _ZN4RAJA8internal22HipKernelLauncherFixedILi1024ENS0_8LoopDataIN4camp5tupleIJNS_4SpanINS_9Iterators16numeric_iteratorIiiPiEEiEESA_EEENS4_IJEEENS3_9resources2v13HipEJZ4mainEUliiE1_EEENS0_24HipStatementListExecutorISH_NS3_4listIJNS_9statement4TileILl1ENS_10tile_fixedILl16EEENS_6policy3hip11hip_indexerINS_17iteration_mapping11StridedLoopILm0EEELNS_23kernel_sync_requirementE0EJNS_3hip11IndexGlobalILNS_9named_dimE1ELin1ELi0EEEEEEJNSL_ILl0ESN_NSQ_IST_LSU_0EJNSW_ILSX_0ELin1ELi0EEEEEEJNSK_3ForILl1ENSQ_IST_LSU_0EJNSW_ILSX_1ELi0ELin1EEEEEEJNS12_ILl0ENSQ_IST_LSU_0EJNSW_ILSX_0ELi0ELin1EEEEEEJNSK_6LambdaILl0EJEEEEEEEEEEEEEEEEEENS0_9LoopTypesINSJ_IJvvEEES1F_EEEEEEvT0_.uses_vcc, 1
	.set _ZN4RAJA8internal22HipKernelLauncherFixedILi1024ENS0_8LoopDataIN4camp5tupleIJNS_4SpanINS_9Iterators16numeric_iteratorIiiPiEEiEESA_EEENS4_IJEEENS3_9resources2v13HipEJZ4mainEUliiE1_EEENS0_24HipStatementListExecutorISH_NS3_4listIJNS_9statement4TileILl1ENS_10tile_fixedILl16EEENS_6policy3hip11hip_indexerINS_17iteration_mapping11StridedLoopILm0EEELNS_23kernel_sync_requirementE0EJNS_3hip11IndexGlobalILNS_9named_dimE1ELin1ELi0EEEEEEJNSL_ILl0ESN_NSQ_IST_LSU_0EJNSW_ILSX_0ELin1ELi0EEEEEEJNSK_3ForILl1ENSQ_IST_LSU_0EJNSW_ILSX_1ELi0ELin1EEEEEEJNS12_ILl0ENSQ_IST_LSU_0EJNSW_ILSX_0ELi0ELin1EEEEEEJNSK_6LambdaILl0EJEEEEEEEEEEEEEEEEEENS0_9LoopTypesINSJ_IJvvEEES1F_EEEEEEvT0_.uses_flat_scratch, 0
	.set _ZN4RAJA8internal22HipKernelLauncherFixedILi1024ENS0_8LoopDataIN4camp5tupleIJNS_4SpanINS_9Iterators16numeric_iteratorIiiPiEEiEESA_EEENS4_IJEEENS3_9resources2v13HipEJZ4mainEUliiE1_EEENS0_24HipStatementListExecutorISH_NS3_4listIJNS_9statement4TileILl1ENS_10tile_fixedILl16EEENS_6policy3hip11hip_indexerINS_17iteration_mapping11StridedLoopILm0EEELNS_23kernel_sync_requirementE0EJNS_3hip11IndexGlobalILNS_9named_dimE1ELin1ELi0EEEEEEJNSL_ILl0ESN_NSQ_IST_LSU_0EJNSW_ILSX_0ELin1ELi0EEEEEEJNSK_3ForILl1ENSQ_IST_LSU_0EJNSW_ILSX_1ELi0ELin1EEEEEEJNS12_ILl0ENSQ_IST_LSU_0EJNSW_ILSX_0ELi0ELin1EEEEEEJNSK_6LambdaILl0EJEEEEEEEEEEEEEEEEEENS0_9LoopTypesINSJ_IJvvEEES1F_EEEEEEvT0_.has_dyn_sized_stack, 0
	.set _ZN4RAJA8internal22HipKernelLauncherFixedILi1024ENS0_8LoopDataIN4camp5tupleIJNS_4SpanINS_9Iterators16numeric_iteratorIiiPiEEiEESA_EEENS4_IJEEENS3_9resources2v13HipEJZ4mainEUliiE1_EEENS0_24HipStatementListExecutorISH_NS3_4listIJNS_9statement4TileILl1ENS_10tile_fixedILl16EEENS_6policy3hip11hip_indexerINS_17iteration_mapping11StridedLoopILm0EEELNS_23kernel_sync_requirementE0EJNS_3hip11IndexGlobalILNS_9named_dimE1ELin1ELi0EEEEEEJNSL_ILl0ESN_NSQ_IST_LSU_0EJNSW_ILSX_0ELin1ELi0EEEEEEJNSK_3ForILl1ENSQ_IST_LSU_0EJNSW_ILSX_1ELi0ELin1EEEEEEJNS12_ILl0ENSQ_IST_LSU_0EJNSW_ILSX_0ELi0ELin1EEEEEEJNSK_6LambdaILl0EJEEEEEEEEEEEEEEEEEENS0_9LoopTypesINSJ_IJvvEEES1F_EEEEEEvT0_.has_recursion, 0
	.set _ZN4RAJA8internal22HipKernelLauncherFixedILi1024ENS0_8LoopDataIN4camp5tupleIJNS_4SpanINS_9Iterators16numeric_iteratorIiiPiEEiEESA_EEENS4_IJEEENS3_9resources2v13HipEJZ4mainEUliiE1_EEENS0_24HipStatementListExecutorISH_NS3_4listIJNS_9statement4TileILl1ENS_10tile_fixedILl16EEENS_6policy3hip11hip_indexerINS_17iteration_mapping11StridedLoopILm0EEELNS_23kernel_sync_requirementE0EJNS_3hip11IndexGlobalILNS_9named_dimE1ELin1ELi0EEEEEEJNSL_ILl0ESN_NSQ_IST_LSU_0EJNSW_ILSX_0ELin1ELi0EEEEEEJNSK_3ForILl1ENSQ_IST_LSU_0EJNSW_ILSX_1ELi0ELin1EEEEEEJNS12_ILl0ENSQ_IST_LSU_0EJNSW_ILSX_0ELi0ELin1EEEEEEJNSK_6LambdaILl0EJEEEEEEEEEEEEEEEEEENS0_9LoopTypesINSJ_IJvvEEES1F_EEEEEEvT0_.has_indirect_call, 0
	.section	.AMDGPU.csdata,"",@progbits
; Kernel info:
; codeLenInByte = 1088
; TotalNumSgprs: 76
; NumVgprs: 43
; ScratchSize: 0
; MemoryBound: 1
; FloatMode: 240
; IeeeMode: 1
; LDSByteSize: 0 bytes/workgroup (compile time only)
; SGPRBlocks: 9
; VGPRBlocks: 10
; NumSGPRsForWavesPerEU: 76
; NumVGPRsForWavesPerEU: 43
; Occupancy: 5
; WaveLimiterHint : 0
; COMPUTE_PGM_RSRC2:SCRATCH_EN: 0
; COMPUTE_PGM_RSRC2:USER_SGPR: 6
; COMPUTE_PGM_RSRC2:TRAP_HANDLER: 0
; COMPUTE_PGM_RSRC2:TGID_X_EN: 1
; COMPUTE_PGM_RSRC2:TGID_Y_EN: 1
; COMPUTE_PGM_RSRC2:TGID_Z_EN: 0
; COMPUTE_PGM_RSRC2:TIDIG_COMP_CNT: 1
	.section	.text._ZN4RAJA8internal22HipKernelLauncherFixedILi1024ENS0_8LoopDataIN4camp5tupleIJNS_4SpanINS_9Iterators16numeric_iteratorIiiPiEEiEESA_SA_EEENS4_IJdEEENS3_9resources2v13HipEJZ4mainEUlRdE1_Z4mainEUliiiSG_E1_Z4mainEUliiSG_E1_EEENS0_24HipStatementListExecutorISK_NS3_4listIJNS_9statement3ForILl1ENS_6policy3hip11hip_indexerINS_17iteration_mapping11StridedLoopILm0EEELNS_23kernel_sync_requirementE0EJNS_3hip11IndexGlobalILNS_9named_dimE0ELin1ELi0EEEEEEJNSO_ILl0ENSR_ISU_LSV_0EJNSX_ILSY_0ELi0ELin1EEEEEEJNSN_6LambdaILl0EJNSM_IJNS0_9LambdaArgINS0_18lambda_arg_param_tELl0EEEEEEEEENSO_ILl2ENSP_10sequential8seq_execEJNS13_ILl1EJEEEEEENS13_ILl2EJNSM_IJNS14_INS0_16lambda_arg_seg_tELl0EEENS14_IS1D_Ll1EEEEEES17_EEEEEEEEEEEENS0_9LoopTypesINSM_IJvvvEEES1M_EEEEEEvT0_,"axG",@progbits,_ZN4RAJA8internal22HipKernelLauncherFixedILi1024ENS0_8LoopDataIN4camp5tupleIJNS_4SpanINS_9Iterators16numeric_iteratorIiiPiEEiEESA_SA_EEENS4_IJdEEENS3_9resources2v13HipEJZ4mainEUlRdE1_Z4mainEUliiiSG_E1_Z4mainEUliiSG_E1_EEENS0_24HipStatementListExecutorISK_NS3_4listIJNS_9statement3ForILl1ENS_6policy3hip11hip_indexerINS_17iteration_mapping11StridedLoopILm0EEELNS_23kernel_sync_requirementE0EJNS_3hip11IndexGlobalILNS_9named_dimE0ELin1ELi0EEEEEEJNSO_ILl0ENSR_ISU_LSV_0EJNSX_ILSY_0ELi0ELin1EEEEEEJNSN_6LambdaILl0EJNSM_IJNS0_9LambdaArgINS0_18lambda_arg_param_tELl0EEEEEEEEENSO_ILl2ENSP_10sequential8seq_execEJNS13_ILl1EJEEEEEENS13_ILl2EJNSM_IJNS14_INS0_16lambda_arg_seg_tELl0EEENS14_IS1D_Ll1EEEEEES17_EEEEEEEEEEEENS0_9LoopTypesINSM_IJvvvEEES1M_EEEEEEvT0_,comdat
	.globl	_ZN4RAJA8internal22HipKernelLauncherFixedILi1024ENS0_8LoopDataIN4camp5tupleIJNS_4SpanINS_9Iterators16numeric_iteratorIiiPiEEiEESA_SA_EEENS4_IJdEEENS3_9resources2v13HipEJZ4mainEUlRdE1_Z4mainEUliiiSG_E1_Z4mainEUliiSG_E1_EEENS0_24HipStatementListExecutorISK_NS3_4listIJNS_9statement3ForILl1ENS_6policy3hip11hip_indexerINS_17iteration_mapping11StridedLoopILm0EEELNS_23kernel_sync_requirementE0EJNS_3hip11IndexGlobalILNS_9named_dimE0ELin1ELi0EEEEEEJNSO_ILl0ENSR_ISU_LSV_0EJNSX_ILSY_0ELi0ELin1EEEEEEJNSN_6LambdaILl0EJNSM_IJNS0_9LambdaArgINS0_18lambda_arg_param_tELl0EEEEEEEEENSO_ILl2ENSP_10sequential8seq_execEJNS13_ILl1EJEEEEEENS13_ILl2EJNSM_IJNS14_INS0_16lambda_arg_seg_tELl0EEENS14_IS1D_Ll1EEEEEES17_EEEEEEEEEEEENS0_9LoopTypesINSM_IJvvvEEES1M_EEEEEEvT0_ ; -- Begin function _ZN4RAJA8internal22HipKernelLauncherFixedILi1024ENS0_8LoopDataIN4camp5tupleIJNS_4SpanINS_9Iterators16numeric_iteratorIiiPiEEiEESA_SA_EEENS4_IJdEEENS3_9resources2v13HipEJZ4mainEUlRdE1_Z4mainEUliiiSG_E1_Z4mainEUliiSG_E1_EEENS0_24HipStatementListExecutorISK_NS3_4listIJNS_9statement3ForILl1ENS_6policy3hip11hip_indexerINS_17iteration_mapping11StridedLoopILm0EEELNS_23kernel_sync_requirementE0EJNS_3hip11IndexGlobalILNS_9named_dimE0ELin1ELi0EEEEEEJNSO_ILl0ENSR_ISU_LSV_0EJNSX_ILSY_0ELi0ELin1EEEEEEJNSN_6LambdaILl0EJNSM_IJNS0_9LambdaArgINS0_18lambda_arg_param_tELl0EEEEEEEEENSO_ILl2ENSP_10sequential8seq_execEJNS13_ILl1EJEEEEEENS13_ILl2EJNSM_IJNS14_INS0_16lambda_arg_seg_tELl0EEENS14_IS1D_Ll1EEEEEES17_EEEEEEEEEEEENS0_9LoopTypesINSM_IJvvvEEES1M_EEEEEEvT0_
	.p2align	8
	.type	_ZN4RAJA8internal22HipKernelLauncherFixedILi1024ENS0_8LoopDataIN4camp5tupleIJNS_4SpanINS_9Iterators16numeric_iteratorIiiPiEEiEESA_SA_EEENS4_IJdEEENS3_9resources2v13HipEJZ4mainEUlRdE1_Z4mainEUliiiSG_E1_Z4mainEUliiSG_E1_EEENS0_24HipStatementListExecutorISK_NS3_4listIJNS_9statement3ForILl1ENS_6policy3hip11hip_indexerINS_17iteration_mapping11StridedLoopILm0EEELNS_23kernel_sync_requirementE0EJNS_3hip11IndexGlobalILNS_9named_dimE0ELin1ELi0EEEEEEJNSO_ILl0ENSR_ISU_LSV_0EJNSX_ILSY_0ELi0ELin1EEEEEEJNSN_6LambdaILl0EJNSM_IJNS0_9LambdaArgINS0_18lambda_arg_param_tELl0EEEEEEEEENSO_ILl2ENSP_10sequential8seq_execEJNS13_ILl1EJEEEEEENS13_ILl2EJNSM_IJNS14_INS0_16lambda_arg_seg_tELl0EEENS14_IS1D_Ll1EEEEEES17_EEEEEEEEEEEENS0_9LoopTypesINSM_IJvvvEEES1M_EEEEEEvT0_,@function
_ZN4RAJA8internal22HipKernelLauncherFixedILi1024ENS0_8LoopDataIN4camp5tupleIJNS_4SpanINS_9Iterators16numeric_iteratorIiiPiEEiEESA_SA_EEENS4_IJdEEENS3_9resources2v13HipEJZ4mainEUlRdE1_Z4mainEUliiiSG_E1_Z4mainEUliiSG_E1_EEENS0_24HipStatementListExecutorISK_NS3_4listIJNS_9statement3ForILl1ENS_6policy3hip11hip_indexerINS_17iteration_mapping11StridedLoopILm0EEELNS_23kernel_sync_requirementE0EJNS_3hip11IndexGlobalILNS_9named_dimE0ELin1ELi0EEEEEEJNSO_ILl0ENSR_ISU_LSV_0EJNSX_ILSY_0ELi0ELin1EEEEEEJNSN_6LambdaILl0EJNSM_IJNS0_9LambdaArgINS0_18lambda_arg_param_tELl0EEEEEEEEENSO_ILl2ENSP_10sequential8seq_execEJNS13_ILl1EJEEEEEENS13_ILl2EJNSM_IJNS14_INS0_16lambda_arg_seg_tELl0EEENS14_IS1D_Ll1EEEEEES17_EEEEEEEEEEEENS0_9LoopTypesINSM_IJvvvEEES1M_EEEEEEvT0_: ; @_ZN4RAJA8internal22HipKernelLauncherFixedILi1024ENS0_8LoopDataIN4camp5tupleIJNS_4SpanINS_9Iterators16numeric_iteratorIiiPiEEiEESA_SA_EEENS4_IJdEEENS3_9resources2v13HipEJZ4mainEUlRdE1_Z4mainEUliiiSG_E1_Z4mainEUliiSG_E1_EEENS0_24HipStatementListExecutorISK_NS3_4listIJNS_9statement3ForILl1ENS_6policy3hip11hip_indexerINS_17iteration_mapping11StridedLoopILm0EEELNS_23kernel_sync_requirementE0EJNS_3hip11IndexGlobalILNS_9named_dimE0ELin1ELi0EEEEEEJNSO_ILl0ENSR_ISU_LSV_0EJNSX_ILSY_0ELi0ELin1EEEEEEJNSN_6LambdaILl0EJNSM_IJNS0_9LambdaArgINS0_18lambda_arg_param_tELl0EEEEEEEEENSO_ILl2ENSP_10sequential8seq_execEJNS13_ILl1EJEEEEEENS13_ILl2EJNSM_IJNS14_INS0_16lambda_arg_seg_tELl0EEENS14_IS1D_Ll1EEEEEES17_EEEEEEEEEEEENS0_9LoopTypesINSM_IJvvvEEES1M_EEEEEEvT0_
; %bb.0:
	s_load_dwordx4 s[8:11], s[4:5], 0x8
	s_waitcnt lgkmcnt(0)
	s_sub_i32 s7, s9, s8
	s_cmp_ge_i32 s6, s7
	s_cbranch_scc1 .LBB3_10
; %bb.1:
	s_load_dwordx2 s[16:17], s[4:5], 0x0
	s_load_dword s9, s[4:5], 0x120
	s_add_u32 s0, s4, 0x120
	s_addc_u32 s1, s5, 0
	v_mov_b32_e32 v5, 0
	s_waitcnt lgkmcnt(0)
	s_sub_i32 s17, s17, s16
	s_cmp_lt_u32 s6, s9
	s_cselect_b32 s2, 12, 18
	s_add_u32 s0, s0, s2
	s_addc_u32 s1, s1, 0
	global_load_ushort v6, v5, s[0:1]
	s_load_dword s11, s[4:5], 0x14
	s_load_dwordx2 s[2:3], s[4:5], 0x30
	s_load_dwordx4 s[12:15], s[4:5], 0xd8
	s_load_dwordx4 s[24:27], s[4:5], 0x48
	s_load_dwordx2 s[20:21], s[4:5], 0x78
	s_load_dwordx4 s[28:31], s[4:5], 0x90
	s_load_dwordx2 s[18:19], s[4:5], 0xc0
	v_cmp_gt_i32_e64 s[0:1], s17, v0
	v_add_u32_e32 v7, s16, v0
	s_waitcnt lgkmcnt(0)
	s_sub_i32 s33, s11, s10
	s_cmp_gt_i32 s33, 0
	s_cselect_b64 s[34:35], -1, 0
	s_ashr_i32 s11, s10, 31
	s_mul_hi_u32 s4, s28, s10
	s_mul_i32 s5, s28, s11
	s_add_i32 s4, s4, s5
	s_mul_i32 s5, s29, s10
	s_add_i32 s5, s4, s5
	s_mul_i32 s4, s28, s10
	s_lshl_b64 s[4:5], s[4:5], 3
	s_add_u32 s4, s20, s4
	s_addc_u32 s5, s21, s5
	s_lshl_b64 s[22:23], s[28:29], 3
	s_mul_hi_u32 s28, s26, s10
	s_mul_i32 s11, s26, s11
	s_add_i32 s11, s28, s11
	s_mul_i32 s28, s27, s10
	s_add_i32 s11, s11, s28
	s_mul_i32 s10, s26, s10
	s_lshl_b64 s[20:21], s[30:31], 3
	s_lshl_b64 s[10:11], s[10:11], 3
	s_add_u32 s36, s2, s10
	v_cndmask_b32_e64 v1, 0, 1, s[34:35]
	s_addc_u32 s37, s3, s11
	s_lshl_b64 s[10:11], s[24:25], 3
	s_add_i32 s38, s8, s6
	s_lshl_b64 s[24:25], s[26:27], 3
	v_mov_b32_e32 v8, s23
	v_cmp_ne_u32_e64 s[2:3], 1, v1
	s_branch .LBB3_3
.LBB3_2:                                ;   in Loop: Header=BB3_3 Depth=1
	s_or_b64 exec, exec, s[26:27]
	s_add_i32 s6, s6, s9
	s_add_i32 s38, s38, s9
	s_cmp_lt_i32 s6, s7
	s_cbranch_scc0 .LBB3_10
.LBB3_3:                                ; =>This Loop Header: Depth=1
                                        ;     Child Loop BB3_7 Depth 2
                                        ;       Child Loop BB3_9 Depth 3
	s_and_saveexec_b64 s[26:27], s[0:1]
	s_cbranch_execz .LBB3_2
; %bb.4:                                ;   in Loop: Header=BB3_3 Depth=1
	s_ashr_i32 s23, s38, 31
	s_mul_hi_u32 s28, s10, s38
	s_mul_i32 s23, s10, s23
	s_add_i32 s23, s28, s23
	s_mul_i32 s28, s11, s38
	s_add_i32 s23, s23, s28
	s_mul_i32 s28, s10, s38
	s_add_u32 s28, s36, s28
	s_addc_u32 s29, s37, s23
	s_add_i32 s23, s6, s8
	s_ashr_i32 s30, s23, 31
	s_mul_i32 s30, s12, s30
	s_mul_hi_u32 s31, s12, s23
	s_add_i32 s30, s31, s30
	s_mul_i32 s31, s13, s23
	s_add_i32 s31, s30, s31
	s_mul_i32 s30, s12, s23
	s_lshl_b64 s[30:31], s[30:31], 3
	s_add_u32 s23, s18, s30
	s_addc_u32 s34, s19, s31
	s_mov_b64 s[30:31], 0
	v_mov_b32_e32 v9, s34
	v_mov_b32_e32 v10, v7
	;; [unrolled: 1-line block ×3, first 2 shown]
	s_branch .LBB3_7
.LBB3_5:                                ;   in Loop: Header=BB3_7 Depth=2
	v_mov_b32_e32 v1, 0
	v_mov_b32_e32 v2, 0
.LBB3_6:                                ;   in Loop: Header=BB3_7 Depth=2
	v_add_u32_e32 v3, s16, v11
	v_ashrrev_i32_e32 v12, 31, v3
	v_mul_lo_u32 v13, s15, v3
	v_mad_u64_u32 v[3:4], s[34:35], s14, v3, 0
	v_mul_lo_u32 v12, s14, v12
	s_waitcnt vmcnt(0)
	v_add_u32_e32 v11, v11, v6
	v_add_u32_e32 v10, v10, v6
	v_add3_u32 v4, v4, v12, v13
	v_lshlrev_b64 v[3:4], 3, v[3:4]
	v_add_co_u32_e32 v3, vcc, s23, v3
	v_addc_co_u32_e32 v4, vcc, v9, v4, vcc
	v_cmp_le_i32_e32 vcc, s17, v11
	s_or_b64 s[30:31], vcc, s[30:31]
	global_store_dwordx2 v[3:4], v[1:2], off
	s_andn2_b64 exec, exec, s[30:31]
	s_cbranch_execz .LBB3_2
.LBB3_7:                                ;   Parent Loop BB3_3 Depth=1
                                        ; =>  This Loop Header: Depth=2
                                        ;       Child Loop BB3_9 Depth 3
	s_and_b64 vcc, exec, s[2:3]
	s_cbranch_vccnz .LBB3_5
; %bb.8:                                ;   in Loop: Header=BB3_7 Depth=2
	v_mov_b32_e32 v1, s4
	v_ashrrev_i32_e32 v12, 31, v10
	v_mov_b32_e32 v2, s5
	v_mad_u64_u32 v[3:4], s[34:35], s20, v10, v[1:2]
	v_mul_lo_u32 v1, s21, v10
	v_mul_lo_u32 v2, s20, v12
	s_mov_b32 s39, 0
	s_mov_b64 s[34:35], s[28:29]
	v_add3_u32 v4, v1, v4, v2
	v_mov_b32_e32 v1, 0
	v_mov_b32_e32 v2, 0
.LBB3_9:                                ;   Parent Loop BB3_3 Depth=1
                                        ;     Parent Loop BB3_7 Depth=2
                                        ; =>    This Inner Loop Header: Depth=3
	global_load_dwordx2 v[12:13], v5, s[34:35]
	global_load_dwordx2 v[14:15], v[3:4], off
	s_add_i32 s39, s39, 1
	s_add_u32 s34, s34, s24
	v_add_co_u32_e32 v3, vcc, s22, v3
	s_addc_u32 s35, s35, s25
	s_cmp_lt_i32 s39, s33
	v_addc_co_u32_e32 v4, vcc, v4, v8, vcc
	s_waitcnt vmcnt(0)
	v_fma_f64 v[1:2], v[12:13], v[14:15], v[1:2]
	s_cbranch_scc1 .LBB3_9
	s_branch .LBB3_6
.LBB3_10:
	s_endpgm
	.section	.rodata,"a",@progbits
	.p2align	6, 0x0
	.amdhsa_kernel _ZN4RAJA8internal22HipKernelLauncherFixedILi1024ENS0_8LoopDataIN4camp5tupleIJNS_4SpanINS_9Iterators16numeric_iteratorIiiPiEEiEESA_SA_EEENS4_IJdEEENS3_9resources2v13HipEJZ4mainEUlRdE1_Z4mainEUliiiSG_E1_Z4mainEUliiSG_E1_EEENS0_24HipStatementListExecutorISK_NS3_4listIJNS_9statement3ForILl1ENS_6policy3hip11hip_indexerINS_17iteration_mapping11StridedLoopILm0EEELNS_23kernel_sync_requirementE0EJNS_3hip11IndexGlobalILNS_9named_dimE0ELin1ELi0EEEEEEJNSO_ILl0ENSR_ISU_LSV_0EJNSX_ILSY_0ELi0ELin1EEEEEEJNSN_6LambdaILl0EJNSM_IJNS0_9LambdaArgINS0_18lambda_arg_param_tELl0EEEEEEEEENSO_ILl2ENSP_10sequential8seq_execEJNS13_ILl1EJEEEEEENS13_ILl2EJNSM_IJNS14_INS0_16lambda_arg_seg_tELl0EEENS14_IS1D_Ll1EEEEEES17_EEEEEEEEEEEENS0_9LoopTypesINSM_IJvvvEEES1M_EEEEEEvT0_
		.amdhsa_group_segment_fixed_size 0
		.amdhsa_private_segment_fixed_size 0
		.amdhsa_kernarg_size 544
		.amdhsa_user_sgpr_count 6
		.amdhsa_user_sgpr_private_segment_buffer 1
		.amdhsa_user_sgpr_dispatch_ptr 0
		.amdhsa_user_sgpr_queue_ptr 0
		.amdhsa_user_sgpr_kernarg_segment_ptr 1
		.amdhsa_user_sgpr_dispatch_id 0
		.amdhsa_user_sgpr_flat_scratch_init 0
		.amdhsa_user_sgpr_private_segment_size 0
		.amdhsa_uses_dynamic_stack 0
		.amdhsa_system_sgpr_private_segment_wavefront_offset 0
		.amdhsa_system_sgpr_workgroup_id_x 1
		.amdhsa_system_sgpr_workgroup_id_y 0
		.amdhsa_system_sgpr_workgroup_id_z 0
		.amdhsa_system_sgpr_workgroup_info 0
		.amdhsa_system_vgpr_workitem_id 0
		.amdhsa_next_free_vgpr 16
		.amdhsa_next_free_sgpr 40
		.amdhsa_reserve_vcc 1
		.amdhsa_reserve_flat_scratch 0
		.amdhsa_float_round_mode_32 0
		.amdhsa_float_round_mode_16_64 0
		.amdhsa_float_denorm_mode_32 3
		.amdhsa_float_denorm_mode_16_64 3
		.amdhsa_dx10_clamp 1
		.amdhsa_ieee_mode 1
		.amdhsa_fp16_overflow 0
		.amdhsa_exception_fp_ieee_invalid_op 0
		.amdhsa_exception_fp_denorm_src 0
		.amdhsa_exception_fp_ieee_div_zero 0
		.amdhsa_exception_fp_ieee_overflow 0
		.amdhsa_exception_fp_ieee_underflow 0
		.amdhsa_exception_fp_ieee_inexact 0
		.amdhsa_exception_int_div_zero 0
	.end_amdhsa_kernel
	.section	.text._ZN4RAJA8internal22HipKernelLauncherFixedILi1024ENS0_8LoopDataIN4camp5tupleIJNS_4SpanINS_9Iterators16numeric_iteratorIiiPiEEiEESA_SA_EEENS4_IJdEEENS3_9resources2v13HipEJZ4mainEUlRdE1_Z4mainEUliiiSG_E1_Z4mainEUliiSG_E1_EEENS0_24HipStatementListExecutorISK_NS3_4listIJNS_9statement3ForILl1ENS_6policy3hip11hip_indexerINS_17iteration_mapping11StridedLoopILm0EEELNS_23kernel_sync_requirementE0EJNS_3hip11IndexGlobalILNS_9named_dimE0ELin1ELi0EEEEEEJNSO_ILl0ENSR_ISU_LSV_0EJNSX_ILSY_0ELi0ELin1EEEEEEJNSN_6LambdaILl0EJNSM_IJNS0_9LambdaArgINS0_18lambda_arg_param_tELl0EEEEEEEEENSO_ILl2ENSP_10sequential8seq_execEJNS13_ILl1EJEEEEEENS13_ILl2EJNSM_IJNS14_INS0_16lambda_arg_seg_tELl0EEENS14_IS1D_Ll1EEEEEES17_EEEEEEEEEEEENS0_9LoopTypesINSM_IJvvvEEES1M_EEEEEEvT0_,"axG",@progbits,_ZN4RAJA8internal22HipKernelLauncherFixedILi1024ENS0_8LoopDataIN4camp5tupleIJNS_4SpanINS_9Iterators16numeric_iteratorIiiPiEEiEESA_SA_EEENS4_IJdEEENS3_9resources2v13HipEJZ4mainEUlRdE1_Z4mainEUliiiSG_E1_Z4mainEUliiSG_E1_EEENS0_24HipStatementListExecutorISK_NS3_4listIJNS_9statement3ForILl1ENS_6policy3hip11hip_indexerINS_17iteration_mapping11StridedLoopILm0EEELNS_23kernel_sync_requirementE0EJNS_3hip11IndexGlobalILNS_9named_dimE0ELin1ELi0EEEEEEJNSO_ILl0ENSR_ISU_LSV_0EJNSX_ILSY_0ELi0ELin1EEEEEEJNSN_6LambdaILl0EJNSM_IJNS0_9LambdaArgINS0_18lambda_arg_param_tELl0EEEEEEEEENSO_ILl2ENSP_10sequential8seq_execEJNS13_ILl1EJEEEEEENS13_ILl2EJNSM_IJNS14_INS0_16lambda_arg_seg_tELl0EEENS14_IS1D_Ll1EEEEEES17_EEEEEEEEEEEENS0_9LoopTypesINSM_IJvvvEEES1M_EEEEEEvT0_,comdat
.Lfunc_end3:
	.size	_ZN4RAJA8internal22HipKernelLauncherFixedILi1024ENS0_8LoopDataIN4camp5tupleIJNS_4SpanINS_9Iterators16numeric_iteratorIiiPiEEiEESA_SA_EEENS4_IJdEEENS3_9resources2v13HipEJZ4mainEUlRdE1_Z4mainEUliiiSG_E1_Z4mainEUliiSG_E1_EEENS0_24HipStatementListExecutorISK_NS3_4listIJNS_9statement3ForILl1ENS_6policy3hip11hip_indexerINS_17iteration_mapping11StridedLoopILm0EEELNS_23kernel_sync_requirementE0EJNS_3hip11IndexGlobalILNS_9named_dimE0ELin1ELi0EEEEEEJNSO_ILl0ENSR_ISU_LSV_0EJNSX_ILSY_0ELi0ELin1EEEEEEJNSN_6LambdaILl0EJNSM_IJNS0_9LambdaArgINS0_18lambda_arg_param_tELl0EEEEEEEEENSO_ILl2ENSP_10sequential8seq_execEJNS13_ILl1EJEEEEEENS13_ILl2EJNSM_IJNS14_INS0_16lambda_arg_seg_tELl0EEENS14_IS1D_Ll1EEEEEES17_EEEEEEEEEEEENS0_9LoopTypesINSM_IJvvvEEES1M_EEEEEEvT0_, .Lfunc_end3-_ZN4RAJA8internal22HipKernelLauncherFixedILi1024ENS0_8LoopDataIN4camp5tupleIJNS_4SpanINS_9Iterators16numeric_iteratorIiiPiEEiEESA_SA_EEENS4_IJdEEENS3_9resources2v13HipEJZ4mainEUlRdE1_Z4mainEUliiiSG_E1_Z4mainEUliiSG_E1_EEENS0_24HipStatementListExecutorISK_NS3_4listIJNS_9statement3ForILl1ENS_6policy3hip11hip_indexerINS_17iteration_mapping11StridedLoopILm0EEELNS_23kernel_sync_requirementE0EJNS_3hip11IndexGlobalILNS_9named_dimE0ELin1ELi0EEEEEEJNSO_ILl0ENSR_ISU_LSV_0EJNSX_ILSY_0ELi0ELin1EEEEEEJNSN_6LambdaILl0EJNSM_IJNS0_9LambdaArgINS0_18lambda_arg_param_tELl0EEEEEEEEENSO_ILl2ENSP_10sequential8seq_execEJNS13_ILl1EJEEEEEENS13_ILl2EJNSM_IJNS14_INS0_16lambda_arg_seg_tELl0EEENS14_IS1D_Ll1EEEEEES17_EEEEEEEEEEEENS0_9LoopTypesINSM_IJvvvEEES1M_EEEEEEvT0_
                                        ; -- End function
	.set _ZN4RAJA8internal22HipKernelLauncherFixedILi1024ENS0_8LoopDataIN4camp5tupleIJNS_4SpanINS_9Iterators16numeric_iteratorIiiPiEEiEESA_SA_EEENS4_IJdEEENS3_9resources2v13HipEJZ4mainEUlRdE1_Z4mainEUliiiSG_E1_Z4mainEUliiSG_E1_EEENS0_24HipStatementListExecutorISK_NS3_4listIJNS_9statement3ForILl1ENS_6policy3hip11hip_indexerINS_17iteration_mapping11StridedLoopILm0EEELNS_23kernel_sync_requirementE0EJNS_3hip11IndexGlobalILNS_9named_dimE0ELin1ELi0EEEEEEJNSO_ILl0ENSR_ISU_LSV_0EJNSX_ILSY_0ELi0ELin1EEEEEEJNSN_6LambdaILl0EJNSM_IJNS0_9LambdaArgINS0_18lambda_arg_param_tELl0EEEEEEEEENSO_ILl2ENSP_10sequential8seq_execEJNS13_ILl1EJEEEEEENS13_ILl2EJNSM_IJNS14_INS0_16lambda_arg_seg_tELl0EEENS14_IS1D_Ll1EEEEEES17_EEEEEEEEEEEENS0_9LoopTypesINSM_IJvvvEEES1M_EEEEEEvT0_.num_vgpr, 16
	.set _ZN4RAJA8internal22HipKernelLauncherFixedILi1024ENS0_8LoopDataIN4camp5tupleIJNS_4SpanINS_9Iterators16numeric_iteratorIiiPiEEiEESA_SA_EEENS4_IJdEEENS3_9resources2v13HipEJZ4mainEUlRdE1_Z4mainEUliiiSG_E1_Z4mainEUliiSG_E1_EEENS0_24HipStatementListExecutorISK_NS3_4listIJNS_9statement3ForILl1ENS_6policy3hip11hip_indexerINS_17iteration_mapping11StridedLoopILm0EEELNS_23kernel_sync_requirementE0EJNS_3hip11IndexGlobalILNS_9named_dimE0ELin1ELi0EEEEEEJNSO_ILl0ENSR_ISU_LSV_0EJNSX_ILSY_0ELi0ELin1EEEEEEJNSN_6LambdaILl0EJNSM_IJNS0_9LambdaArgINS0_18lambda_arg_param_tELl0EEEEEEEEENSO_ILl2ENSP_10sequential8seq_execEJNS13_ILl1EJEEEEEENS13_ILl2EJNSM_IJNS14_INS0_16lambda_arg_seg_tELl0EEENS14_IS1D_Ll1EEEEEES17_EEEEEEEEEEEENS0_9LoopTypesINSM_IJvvvEEES1M_EEEEEEvT0_.num_agpr, 0
	.set _ZN4RAJA8internal22HipKernelLauncherFixedILi1024ENS0_8LoopDataIN4camp5tupleIJNS_4SpanINS_9Iterators16numeric_iteratorIiiPiEEiEESA_SA_EEENS4_IJdEEENS3_9resources2v13HipEJZ4mainEUlRdE1_Z4mainEUliiiSG_E1_Z4mainEUliiSG_E1_EEENS0_24HipStatementListExecutorISK_NS3_4listIJNS_9statement3ForILl1ENS_6policy3hip11hip_indexerINS_17iteration_mapping11StridedLoopILm0EEELNS_23kernel_sync_requirementE0EJNS_3hip11IndexGlobalILNS_9named_dimE0ELin1ELi0EEEEEEJNSO_ILl0ENSR_ISU_LSV_0EJNSX_ILSY_0ELi0ELin1EEEEEEJNSN_6LambdaILl0EJNSM_IJNS0_9LambdaArgINS0_18lambda_arg_param_tELl0EEEEEEEEENSO_ILl2ENSP_10sequential8seq_execEJNS13_ILl1EJEEEEEENS13_ILl2EJNSM_IJNS14_INS0_16lambda_arg_seg_tELl0EEENS14_IS1D_Ll1EEEEEES17_EEEEEEEEEEEENS0_9LoopTypesINSM_IJvvvEEES1M_EEEEEEvT0_.numbered_sgpr, 40
	.set _ZN4RAJA8internal22HipKernelLauncherFixedILi1024ENS0_8LoopDataIN4camp5tupleIJNS_4SpanINS_9Iterators16numeric_iteratorIiiPiEEiEESA_SA_EEENS4_IJdEEENS3_9resources2v13HipEJZ4mainEUlRdE1_Z4mainEUliiiSG_E1_Z4mainEUliiSG_E1_EEENS0_24HipStatementListExecutorISK_NS3_4listIJNS_9statement3ForILl1ENS_6policy3hip11hip_indexerINS_17iteration_mapping11StridedLoopILm0EEELNS_23kernel_sync_requirementE0EJNS_3hip11IndexGlobalILNS_9named_dimE0ELin1ELi0EEEEEEJNSO_ILl0ENSR_ISU_LSV_0EJNSX_ILSY_0ELi0ELin1EEEEEEJNSN_6LambdaILl0EJNSM_IJNS0_9LambdaArgINS0_18lambda_arg_param_tELl0EEEEEEEEENSO_ILl2ENSP_10sequential8seq_execEJNS13_ILl1EJEEEEEENS13_ILl2EJNSM_IJNS14_INS0_16lambda_arg_seg_tELl0EEENS14_IS1D_Ll1EEEEEES17_EEEEEEEEEEEENS0_9LoopTypesINSM_IJvvvEEES1M_EEEEEEvT0_.num_named_barrier, 0
	.set _ZN4RAJA8internal22HipKernelLauncherFixedILi1024ENS0_8LoopDataIN4camp5tupleIJNS_4SpanINS_9Iterators16numeric_iteratorIiiPiEEiEESA_SA_EEENS4_IJdEEENS3_9resources2v13HipEJZ4mainEUlRdE1_Z4mainEUliiiSG_E1_Z4mainEUliiSG_E1_EEENS0_24HipStatementListExecutorISK_NS3_4listIJNS_9statement3ForILl1ENS_6policy3hip11hip_indexerINS_17iteration_mapping11StridedLoopILm0EEELNS_23kernel_sync_requirementE0EJNS_3hip11IndexGlobalILNS_9named_dimE0ELin1ELi0EEEEEEJNSO_ILl0ENSR_ISU_LSV_0EJNSX_ILSY_0ELi0ELin1EEEEEEJNSN_6LambdaILl0EJNSM_IJNS0_9LambdaArgINS0_18lambda_arg_param_tELl0EEEEEEEEENSO_ILl2ENSP_10sequential8seq_execEJNS13_ILl1EJEEEEEENS13_ILl2EJNSM_IJNS14_INS0_16lambda_arg_seg_tELl0EEENS14_IS1D_Ll1EEEEEES17_EEEEEEEEEEEENS0_9LoopTypesINSM_IJvvvEEES1M_EEEEEEvT0_.private_seg_size, 0
	.set _ZN4RAJA8internal22HipKernelLauncherFixedILi1024ENS0_8LoopDataIN4camp5tupleIJNS_4SpanINS_9Iterators16numeric_iteratorIiiPiEEiEESA_SA_EEENS4_IJdEEENS3_9resources2v13HipEJZ4mainEUlRdE1_Z4mainEUliiiSG_E1_Z4mainEUliiSG_E1_EEENS0_24HipStatementListExecutorISK_NS3_4listIJNS_9statement3ForILl1ENS_6policy3hip11hip_indexerINS_17iteration_mapping11StridedLoopILm0EEELNS_23kernel_sync_requirementE0EJNS_3hip11IndexGlobalILNS_9named_dimE0ELin1ELi0EEEEEEJNSO_ILl0ENSR_ISU_LSV_0EJNSX_ILSY_0ELi0ELin1EEEEEEJNSN_6LambdaILl0EJNSM_IJNS0_9LambdaArgINS0_18lambda_arg_param_tELl0EEEEEEEEENSO_ILl2ENSP_10sequential8seq_execEJNS13_ILl1EJEEEEEENS13_ILl2EJNSM_IJNS14_INS0_16lambda_arg_seg_tELl0EEENS14_IS1D_Ll1EEEEEES17_EEEEEEEEEEEENS0_9LoopTypesINSM_IJvvvEEES1M_EEEEEEvT0_.uses_vcc, 1
	.set _ZN4RAJA8internal22HipKernelLauncherFixedILi1024ENS0_8LoopDataIN4camp5tupleIJNS_4SpanINS_9Iterators16numeric_iteratorIiiPiEEiEESA_SA_EEENS4_IJdEEENS3_9resources2v13HipEJZ4mainEUlRdE1_Z4mainEUliiiSG_E1_Z4mainEUliiSG_E1_EEENS0_24HipStatementListExecutorISK_NS3_4listIJNS_9statement3ForILl1ENS_6policy3hip11hip_indexerINS_17iteration_mapping11StridedLoopILm0EEELNS_23kernel_sync_requirementE0EJNS_3hip11IndexGlobalILNS_9named_dimE0ELin1ELi0EEEEEEJNSO_ILl0ENSR_ISU_LSV_0EJNSX_ILSY_0ELi0ELin1EEEEEEJNSN_6LambdaILl0EJNSM_IJNS0_9LambdaArgINS0_18lambda_arg_param_tELl0EEEEEEEEENSO_ILl2ENSP_10sequential8seq_execEJNS13_ILl1EJEEEEEENS13_ILl2EJNSM_IJNS14_INS0_16lambda_arg_seg_tELl0EEENS14_IS1D_Ll1EEEEEES17_EEEEEEEEEEEENS0_9LoopTypesINSM_IJvvvEEES1M_EEEEEEvT0_.uses_flat_scratch, 0
	.set _ZN4RAJA8internal22HipKernelLauncherFixedILi1024ENS0_8LoopDataIN4camp5tupleIJNS_4SpanINS_9Iterators16numeric_iteratorIiiPiEEiEESA_SA_EEENS4_IJdEEENS3_9resources2v13HipEJZ4mainEUlRdE1_Z4mainEUliiiSG_E1_Z4mainEUliiSG_E1_EEENS0_24HipStatementListExecutorISK_NS3_4listIJNS_9statement3ForILl1ENS_6policy3hip11hip_indexerINS_17iteration_mapping11StridedLoopILm0EEELNS_23kernel_sync_requirementE0EJNS_3hip11IndexGlobalILNS_9named_dimE0ELin1ELi0EEEEEEJNSO_ILl0ENSR_ISU_LSV_0EJNSX_ILSY_0ELi0ELin1EEEEEEJNSN_6LambdaILl0EJNSM_IJNS0_9LambdaArgINS0_18lambda_arg_param_tELl0EEEEEEEEENSO_ILl2ENSP_10sequential8seq_execEJNS13_ILl1EJEEEEEENS13_ILl2EJNSM_IJNS14_INS0_16lambda_arg_seg_tELl0EEENS14_IS1D_Ll1EEEEEES17_EEEEEEEEEEEENS0_9LoopTypesINSM_IJvvvEEES1M_EEEEEEvT0_.has_dyn_sized_stack, 0
	.set _ZN4RAJA8internal22HipKernelLauncherFixedILi1024ENS0_8LoopDataIN4camp5tupleIJNS_4SpanINS_9Iterators16numeric_iteratorIiiPiEEiEESA_SA_EEENS4_IJdEEENS3_9resources2v13HipEJZ4mainEUlRdE1_Z4mainEUliiiSG_E1_Z4mainEUliiSG_E1_EEENS0_24HipStatementListExecutorISK_NS3_4listIJNS_9statement3ForILl1ENS_6policy3hip11hip_indexerINS_17iteration_mapping11StridedLoopILm0EEELNS_23kernel_sync_requirementE0EJNS_3hip11IndexGlobalILNS_9named_dimE0ELin1ELi0EEEEEEJNSO_ILl0ENSR_ISU_LSV_0EJNSX_ILSY_0ELi0ELin1EEEEEEJNSN_6LambdaILl0EJNSM_IJNS0_9LambdaArgINS0_18lambda_arg_param_tELl0EEEEEEEEENSO_ILl2ENSP_10sequential8seq_execEJNS13_ILl1EJEEEEEENS13_ILl2EJNSM_IJNS14_INS0_16lambda_arg_seg_tELl0EEENS14_IS1D_Ll1EEEEEES17_EEEEEEEEEEEENS0_9LoopTypesINSM_IJvvvEEES1M_EEEEEEvT0_.has_recursion, 0
	.set _ZN4RAJA8internal22HipKernelLauncherFixedILi1024ENS0_8LoopDataIN4camp5tupleIJNS_4SpanINS_9Iterators16numeric_iteratorIiiPiEEiEESA_SA_EEENS4_IJdEEENS3_9resources2v13HipEJZ4mainEUlRdE1_Z4mainEUliiiSG_E1_Z4mainEUliiSG_E1_EEENS0_24HipStatementListExecutorISK_NS3_4listIJNS_9statement3ForILl1ENS_6policy3hip11hip_indexerINS_17iteration_mapping11StridedLoopILm0EEELNS_23kernel_sync_requirementE0EJNS_3hip11IndexGlobalILNS_9named_dimE0ELin1ELi0EEEEEEJNSO_ILl0ENSR_ISU_LSV_0EJNSX_ILSY_0ELi0ELin1EEEEEEJNSN_6LambdaILl0EJNSM_IJNS0_9LambdaArgINS0_18lambda_arg_param_tELl0EEEEEEEEENSO_ILl2ENSP_10sequential8seq_execEJNS13_ILl1EJEEEEEENS13_ILl2EJNSM_IJNS14_INS0_16lambda_arg_seg_tELl0EEENS14_IS1D_Ll1EEEEEES17_EEEEEEEEEEEENS0_9LoopTypesINSM_IJvvvEEES1M_EEEEEEvT0_.has_indirect_call, 0
	.section	.AMDGPU.csdata,"",@progbits
; Kernel info:
; codeLenInByte = 652
; TotalNumSgprs: 44
; NumVgprs: 16
; ScratchSize: 0
; MemoryBound: 0
; FloatMode: 240
; IeeeMode: 1
; LDSByteSize: 0 bytes/workgroup (compile time only)
; SGPRBlocks: 5
; VGPRBlocks: 3
; NumSGPRsForWavesPerEU: 44
; NumVGPRsForWavesPerEU: 16
; Occupancy: 10
; WaveLimiterHint : 0
; COMPUTE_PGM_RSRC2:SCRATCH_EN: 0
; COMPUTE_PGM_RSRC2:USER_SGPR: 6
; COMPUTE_PGM_RSRC2:TRAP_HANDLER: 0
; COMPUTE_PGM_RSRC2:TGID_X_EN: 1
; COMPUTE_PGM_RSRC2:TGID_Y_EN: 0
; COMPUTE_PGM_RSRC2:TGID_Z_EN: 0
; COMPUTE_PGM_RSRC2:TIDIG_COMP_CNT: 0
	.section	.text._ZN4RAJA8internal22HipKernelLauncherFixedILi1024ENS0_8LoopDataIN4camp5tupleIJNS_4SpanINS_9Iterators16numeric_iteratorIiiPiEEiEESA_SA_EEENS4_IJdEEENS3_9resources2v13HipEJZ4mainEUlRdE2_Z4mainEUliiiSG_E2_Z4mainEUliiSG_E2_EEENS0_24HipStatementListExecutorISK_NS3_4listIJNS_9statement4TileILl1ENS_10tile_fixedILl16EEENS_6policy3hip11hip_indexerINS_17iteration_mapping11StridedLoopILm0EEELNS_23kernel_sync_requirementE0EJNS_3hip11IndexGlobalILNS_9named_dimE1ELin1ELi0EEEEEEJNSO_ILl0ESQ_NST_ISW_LSX_0EJNSZ_ILS10_0ELin1ELi0EEEEEEJNSN_3ForILl1ENST_ISW_LSX_0EJNSZ_ILS10_1ELi0ELin1EEEEEEJNS15_ILl0ENST_ISW_LSX_0EJNSZ_ILS10_0ELi0ELin1EEEEEEJNSN_6LambdaILl0EJNSM_IJNS0_9LambdaArgINS0_18lambda_arg_param_tELl0EEEEEEEEENS15_ILl2ENSR_10sequential8seq_execEJNS1A_ILl1EJNSM_IJNS1B_INS0_16lambda_arg_seg_tELl0EEENS1B_IS1I_Ll1EEENS1B_IS1I_Ll2EEEEEES1E_EEEEEENS1A_ILl2EJNSM_IJS1J_S1K_EEES1E_EEEEEEEEEEEEEEEEEENS0_9LoopTypesINSM_IJvvvEEES1X_EEEEEEvT0_,"axG",@progbits,_ZN4RAJA8internal22HipKernelLauncherFixedILi1024ENS0_8LoopDataIN4camp5tupleIJNS_4SpanINS_9Iterators16numeric_iteratorIiiPiEEiEESA_SA_EEENS4_IJdEEENS3_9resources2v13HipEJZ4mainEUlRdE2_Z4mainEUliiiSG_E2_Z4mainEUliiSG_E2_EEENS0_24HipStatementListExecutorISK_NS3_4listIJNS_9statement4TileILl1ENS_10tile_fixedILl16EEENS_6policy3hip11hip_indexerINS_17iteration_mapping11StridedLoopILm0EEELNS_23kernel_sync_requirementE0EJNS_3hip11IndexGlobalILNS_9named_dimE1ELin1ELi0EEEEEEJNSO_ILl0ESQ_NST_ISW_LSX_0EJNSZ_ILS10_0ELin1ELi0EEEEEEJNSN_3ForILl1ENST_ISW_LSX_0EJNSZ_ILS10_1ELi0ELin1EEEEEEJNS15_ILl0ENST_ISW_LSX_0EJNSZ_ILS10_0ELi0ELin1EEEEEEJNSN_6LambdaILl0EJNSM_IJNS0_9LambdaArgINS0_18lambda_arg_param_tELl0EEEEEEEEENS15_ILl2ENSR_10sequential8seq_execEJNS1A_ILl1EJNSM_IJNS1B_INS0_16lambda_arg_seg_tELl0EEENS1B_IS1I_Ll1EEENS1B_IS1I_Ll2EEEEEES1E_EEEEEENS1A_ILl2EJNSM_IJS1J_S1K_EEES1E_EEEEEEEEEEEEEEEEEENS0_9LoopTypesINSM_IJvvvEEES1X_EEEEEEvT0_,comdat
	.globl	_ZN4RAJA8internal22HipKernelLauncherFixedILi1024ENS0_8LoopDataIN4camp5tupleIJNS_4SpanINS_9Iterators16numeric_iteratorIiiPiEEiEESA_SA_EEENS4_IJdEEENS3_9resources2v13HipEJZ4mainEUlRdE2_Z4mainEUliiiSG_E2_Z4mainEUliiSG_E2_EEENS0_24HipStatementListExecutorISK_NS3_4listIJNS_9statement4TileILl1ENS_10tile_fixedILl16EEENS_6policy3hip11hip_indexerINS_17iteration_mapping11StridedLoopILm0EEELNS_23kernel_sync_requirementE0EJNS_3hip11IndexGlobalILNS_9named_dimE1ELin1ELi0EEEEEEJNSO_ILl0ESQ_NST_ISW_LSX_0EJNSZ_ILS10_0ELin1ELi0EEEEEEJNSN_3ForILl1ENST_ISW_LSX_0EJNSZ_ILS10_1ELi0ELin1EEEEEEJNS15_ILl0ENST_ISW_LSX_0EJNSZ_ILS10_0ELi0ELin1EEEEEEJNSN_6LambdaILl0EJNSM_IJNS0_9LambdaArgINS0_18lambda_arg_param_tELl0EEEEEEEEENS15_ILl2ENSR_10sequential8seq_execEJNS1A_ILl1EJNSM_IJNS1B_INS0_16lambda_arg_seg_tELl0EEENS1B_IS1I_Ll1EEENS1B_IS1I_Ll2EEEEEES1E_EEEEEENS1A_ILl2EJNSM_IJS1J_S1K_EEES1E_EEEEEEEEEEEEEEEEEENS0_9LoopTypesINSM_IJvvvEEES1X_EEEEEEvT0_ ; -- Begin function _ZN4RAJA8internal22HipKernelLauncherFixedILi1024ENS0_8LoopDataIN4camp5tupleIJNS_4SpanINS_9Iterators16numeric_iteratorIiiPiEEiEESA_SA_EEENS4_IJdEEENS3_9resources2v13HipEJZ4mainEUlRdE2_Z4mainEUliiiSG_E2_Z4mainEUliiSG_E2_EEENS0_24HipStatementListExecutorISK_NS3_4listIJNS_9statement4TileILl1ENS_10tile_fixedILl16EEENS_6policy3hip11hip_indexerINS_17iteration_mapping11StridedLoopILm0EEELNS_23kernel_sync_requirementE0EJNS_3hip11IndexGlobalILNS_9named_dimE1ELin1ELi0EEEEEEJNSO_ILl0ESQ_NST_ISW_LSX_0EJNSZ_ILS10_0ELin1ELi0EEEEEEJNSN_3ForILl1ENST_ISW_LSX_0EJNSZ_ILS10_1ELi0ELin1EEEEEEJNS15_ILl0ENST_ISW_LSX_0EJNSZ_ILS10_0ELi0ELin1EEEEEEJNSN_6LambdaILl0EJNSM_IJNS0_9LambdaArgINS0_18lambda_arg_param_tELl0EEEEEEEEENS15_ILl2ENSR_10sequential8seq_execEJNS1A_ILl1EJNSM_IJNS1B_INS0_16lambda_arg_seg_tELl0EEENS1B_IS1I_Ll1EEENS1B_IS1I_Ll2EEEEEES1E_EEEEEENS1A_ILl2EJNSM_IJS1J_S1K_EEES1E_EEEEEEEEEEEEEEEEEENS0_9LoopTypesINSM_IJvvvEEES1X_EEEEEEvT0_
	.p2align	8
	.type	_ZN4RAJA8internal22HipKernelLauncherFixedILi1024ENS0_8LoopDataIN4camp5tupleIJNS_4SpanINS_9Iterators16numeric_iteratorIiiPiEEiEESA_SA_EEENS4_IJdEEENS3_9resources2v13HipEJZ4mainEUlRdE2_Z4mainEUliiiSG_E2_Z4mainEUliiSG_E2_EEENS0_24HipStatementListExecutorISK_NS3_4listIJNS_9statement4TileILl1ENS_10tile_fixedILl16EEENS_6policy3hip11hip_indexerINS_17iteration_mapping11StridedLoopILm0EEELNS_23kernel_sync_requirementE0EJNS_3hip11IndexGlobalILNS_9named_dimE1ELin1ELi0EEEEEEJNSO_ILl0ESQ_NST_ISW_LSX_0EJNSZ_ILS10_0ELin1ELi0EEEEEEJNSN_3ForILl1ENST_ISW_LSX_0EJNSZ_ILS10_1ELi0ELin1EEEEEEJNS15_ILl0ENST_ISW_LSX_0EJNSZ_ILS10_0ELi0ELin1EEEEEEJNSN_6LambdaILl0EJNSM_IJNS0_9LambdaArgINS0_18lambda_arg_param_tELl0EEEEEEEEENS15_ILl2ENSR_10sequential8seq_execEJNS1A_ILl1EJNSM_IJNS1B_INS0_16lambda_arg_seg_tELl0EEENS1B_IS1I_Ll1EEENS1B_IS1I_Ll2EEEEEES1E_EEEEEENS1A_ILl2EJNSM_IJS1J_S1K_EEES1E_EEEEEEEEEEEEEEEEEENS0_9LoopTypesINSM_IJvvvEEES1X_EEEEEEvT0_,@function
_ZN4RAJA8internal22HipKernelLauncherFixedILi1024ENS0_8LoopDataIN4camp5tupleIJNS_4SpanINS_9Iterators16numeric_iteratorIiiPiEEiEESA_SA_EEENS4_IJdEEENS3_9resources2v13HipEJZ4mainEUlRdE2_Z4mainEUliiiSG_E2_Z4mainEUliiSG_E2_EEENS0_24HipStatementListExecutorISK_NS3_4listIJNS_9statement4TileILl1ENS_10tile_fixedILl16EEENS_6policy3hip11hip_indexerINS_17iteration_mapping11StridedLoopILm0EEELNS_23kernel_sync_requirementE0EJNS_3hip11IndexGlobalILNS_9named_dimE1ELin1ELi0EEEEEEJNSO_ILl0ESQ_NST_ISW_LSX_0EJNSZ_ILS10_0ELin1ELi0EEEEEEJNSN_3ForILl1ENST_ISW_LSX_0EJNSZ_ILS10_1ELi0ELin1EEEEEEJNS15_ILl0ENST_ISW_LSX_0EJNSZ_ILS10_0ELi0ELin1EEEEEEJNSN_6LambdaILl0EJNSM_IJNS0_9LambdaArgINS0_18lambda_arg_param_tELl0EEEEEEEEENS15_ILl2ENSR_10sequential8seq_execEJNS1A_ILl1EJNSM_IJNS1B_INS0_16lambda_arg_seg_tELl0EEENS1B_IS1I_Ll1EEENS1B_IS1I_Ll2EEEEEES1E_EEEEEENS1A_ILl2EJNSM_IJS1J_S1K_EEES1E_EEEEEEEEEEEEEEEEEENS0_9LoopTypesINSM_IJvvvEEES1X_EEEEEEvT0_: ; @_ZN4RAJA8internal22HipKernelLauncherFixedILi1024ENS0_8LoopDataIN4camp5tupleIJNS_4SpanINS_9Iterators16numeric_iteratorIiiPiEEiEESA_SA_EEENS4_IJdEEENS3_9resources2v13HipEJZ4mainEUlRdE2_Z4mainEUliiiSG_E2_Z4mainEUliiSG_E2_EEENS0_24HipStatementListExecutorISK_NS3_4listIJNS_9statement4TileILl1ENS_10tile_fixedILl16EEENS_6policy3hip11hip_indexerINS_17iteration_mapping11StridedLoopILm0EEELNS_23kernel_sync_requirementE0EJNS_3hip11IndexGlobalILNS_9named_dimE1ELin1ELi0EEEEEEJNSO_ILl0ESQ_NST_ISW_LSX_0EJNSZ_ILS10_0ELin1ELi0EEEEEEJNSN_3ForILl1ENST_ISW_LSX_0EJNSZ_ILS10_1ELi0ELin1EEEEEEJNS15_ILl0ENST_ISW_LSX_0EJNSZ_ILS10_0ELi0ELin1EEEEEEJNSN_6LambdaILl0EJNSM_IJNS0_9LambdaArgINS0_18lambda_arg_param_tELl0EEEEEEEEENS15_ILl2ENSR_10sequential8seq_execEJNS1A_ILl1EJNSM_IJNS1B_INS0_16lambda_arg_seg_tELl0EEENS1B_IS1I_Ll1EEENS1B_IS1I_Ll2EEEEEES1E_EEEEEENS1A_ILl2EJNSM_IJS1J_S1K_EEES1E_EEEEEEEEEEEEEEEEEENS0_9LoopTypesINSM_IJvvvEEES1X_EEEEEEvT0_
; %bb.0:
	s_load_dwordx2 s[12:13], s[4:5], 0x8
	s_lshl_b32 s44, s7, 4
	s_waitcnt lgkmcnt(0)
	s_sub_i32 s33, s13, s12
	s_cmp_ge_i32 s44, s33
	s_cbranch_scc1 .LBB4_16
; %bb.1:
	s_load_dwordx2 s[34:35], s[4:5], 0x10
	s_load_dwordx4 s[0:3], s[4:5], 0x48
	s_load_dwordx2 s[22:23], s[4:5], 0x78
	s_load_dwordx2 s[36:37], s[4:5], 0x30
	;; [unrolled: 1-line block ×3, first 2 shown]
	s_load_dwordx4 s[8:11], s[4:5], 0xd8
	s_load_dwordx2 s[20:21], s[4:5], 0x120
	s_load_dwordx4 s[28:31], s[4:5], 0x90
	s_load_dwordx2 s[16:17], s[4:5], 0xc0
	s_waitcnt lgkmcnt(0)
	s_ashr_i32 s38, s34, 31
	s_add_u32 s18, s4, 0x120
	s_addc_u32 s19, s5, 0
	s_lshl_b32 s45, s21, 4
	s_lshl_b32 s46, s6, 4
	;; [unrolled: 1-line block ×3, first 2 shown]
	s_cmp_lt_u32 s6, s20
	s_cselect_b32 s4, 12, 18
	s_add_u32 s20, s18, s4
	s_addc_u32 s21, s19, 0
	s_sub_i32 s48, s15, s14
	s_cmp_lt_i32 s46, s48
	s_cselect_b64 s[4:5], -1, 0
	s_sub_i32 s49, s35, s34
	s_cmp_gt_i32 s49, 0
	s_mul_hi_u32 s24, s28, s34
	s_mul_i32 s25, s28, s38
	s_cselect_b64 s[6:7], -1, 0
	s_add_i32 s24, s24, s25
	s_mul_i32 s25, s29, s34
	s_add_i32 s25, s24, s25
	s_mul_i32 s24, s28, s34
	s_lshl_b64 s[24:25], s[24:25], 3
	s_add_u32 s22, s22, s24
	s_addc_u32 s23, s23, s25
	s_add_i32 s26, s14, s46
	v_add_u32_e32 v10, s26, v0
	s_lshl_b64 s[26:27], s[28:29], 3
	s_mul_hi_u32 s28, s2, s34
	s_mul_i32 s29, s2, s38
	s_add_i32 s28, s28, s29
	s_mul_i32 s29, s3, s34
	s_add_i32 s29, s28, s29
	s_mul_i32 s28, s2, s34
	s_lshl_b64 s[24:25], s[30:31], 3
	s_lshl_b64 s[28:29], s[28:29], 3
	s_add_u32 s28, s36, s28
	s_addc_u32 s29, s37, s29
	s_lshl_b64 s[30:31], s[0:1], 3
	s_add_i32 s0, s12, s44
	v_cndmask_b32_e64 v2, 0, 1, s[4:5]
	v_add_u32_e32 v11, s0, v1
	s_lshl_b64 s[34:35], s[2:3], 3
	v_cmp_ne_u32_e64 s[0:1], 1, v2
	v_cndmask_b32_e64 v2, 0, 1, s[6:7]
	v_mov_b32_e32 v12, 0
	v_cmp_ne_u32_e64 s[2:3], 1, v2
	v_mov_b32_e32 v13, s27
	v_mov_b32_e32 v14, s35
	s_branch .LBB4_3
.LBB4_2:                                ;   in Loop: Header=BB4_3 Depth=1
	s_add_i32 s44, s44, s45
	s_cmp_lt_i32 s44, s33
	v_add_u32_e32 v11, s45, v11
	s_cbranch_scc0 .LBB4_16
.LBB4_3:                                ; =>This Loop Header: Depth=1
                                        ;     Child Loop BB4_6 Depth 2
                                        ;       Child Loop BB4_9 Depth 3
                                        ;         Child Loop BB4_13 Depth 4
                                        ;           Child Loop BB4_15 Depth 5
	s_and_b64 vcc, exec, s[0:1]
	s_cbranch_vccnz .LBB4_2
; %bb.4:                                ;   in Loop: Header=BB4_3 Depth=1
	s_load_dword s4, s[18:19], 0xc
	s_add_i32 s27, s44, s12
	s_add_i32 s5, s27, 16
	s_min_i32 s5, s5, s13
	s_sub_i32 s35, s5, s27
	s_waitcnt lgkmcnt(0)
	s_lshr_b32 s50, s4, 16
	v_cmp_gt_i32_e64 s[4:5], s35, v1
	v_mov_b32_e32 v15, v10
	s_mov_b32 s51, s46
	s_branch .LBB4_6
.LBB4_5:                                ;   in Loop: Header=BB4_6 Depth=2
	s_or_b64 exec, exec, s[36:37]
	s_add_i32 s51, s51, s47
	s_cmp_lt_i32 s51, s48
	v_add_u32_e32 v15, s47, v15
	s_cbranch_scc0 .LBB4_2
.LBB4_6:                                ;   Parent Loop BB4_3 Depth=1
                                        ; =>  This Loop Header: Depth=2
                                        ;       Child Loop BB4_9 Depth 3
                                        ;         Child Loop BB4_13 Depth 4
                                        ;           Child Loop BB4_15 Depth 5
	s_and_saveexec_b64 s[36:37], s[4:5]
	s_cbranch_execz .LBB4_5
; %bb.7:                                ;   in Loop: Header=BB4_6 Depth=2
	global_load_ushort v16, v12, s[20:21]
	s_add_i32 s52, s51, s14
	s_add_i32 s6, s52, 16
	s_min_i32 s6, s6, s15
	s_sub_i32 s53, s6, s52
	v_cmp_gt_i32_e64 s[6:7], s53, v0
	s_mov_b64 s[38:39], 0
	v_mov_b32_e32 v17, v11
	v_mov_b32_e32 v18, v1
	s_branch .LBB4_9
.LBB4_8:                                ;   in Loop: Header=BB4_9 Depth=3
	s_or_b64 exec, exec, s[40:41]
	v_add_u32_e32 v18, s50, v18
	v_cmp_le_i32_e32 vcc, s35, v18
	s_or_b64 s[38:39], vcc, s[38:39]
	v_add_u32_e32 v17, s50, v17
	s_andn2_b64 exec, exec, s[38:39]
	s_cbranch_execz .LBB4_5
.LBB4_9:                                ;   Parent Loop BB4_3 Depth=1
                                        ;     Parent Loop BB4_6 Depth=2
                                        ; =>    This Loop Header: Depth=3
                                        ;         Child Loop BB4_13 Depth 4
                                        ;           Child Loop BB4_15 Depth 5
	s_and_saveexec_b64 s[40:41], s[6:7]
	s_cbranch_execz .LBB4_8
; %bb.10:                               ;   in Loop: Header=BB4_9 Depth=3
	v_ashrrev_i32_e32 v4, 31, v17
	v_mul_lo_u32 v7, s30, v4
	v_add_u32_e32 v4, s27, v18
	v_ashrrev_i32_e32 v5, 31, v4
	v_mul_lo_u32 v8, s8, v5
	v_mul_lo_u32 v9, s9, v4
	v_mad_u64_u32 v[4:5], s[42:43], s8, v4, 0
	v_mov_b32_e32 v2, s28
	v_mov_b32_e32 v3, s29
	v_mad_u64_u32 v[2:3], s[42:43], s30, v17, v[2:3]
	v_mul_lo_u32 v6, s31, v17
	v_add3_u32 v5, v5, v8, v9
	v_lshlrev_b64 v[4:5], 3, v[4:5]
	s_mov_b64 s[42:43], 0
	v_add3_u32 v3, v6, v3, v7
	v_mov_b32_e32 v6, s17
	v_add_co_u32_e32 v19, vcc, s16, v4
	v_addc_co_u32_e32 v20, vcc, v6, v5, vcc
	v_mov_b32_e32 v21, v15
	v_mov_b32_e32 v22, v0
	s_branch .LBB4_13
.LBB4_11:                               ;   in Loop: Header=BB4_13 Depth=4
	v_mov_b32_e32 v4, 0
	v_mov_b32_e32 v5, 0
.LBB4_12:                               ;   in Loop: Header=BB4_13 Depth=4
	v_add_u32_e32 v6, s52, v22
	v_ashrrev_i32_e32 v8, 31, v6
	v_mul_lo_u32 v9, s11, v6
	v_mad_u64_u32 v[6:7], s[54:55], s10, v6, 0
	v_mul_lo_u32 v8, s10, v8
	s_waitcnt vmcnt(0)
	v_add_u32_e32 v22, v22, v16
	v_add_u32_e32 v21, v21, v16
	v_add3_u32 v7, v7, v8, v9
	v_lshlrev_b64 v[6:7], 3, v[6:7]
	v_add_co_u32_e32 v6, vcc, v19, v6
	v_addc_co_u32_e32 v7, vcc, v20, v7, vcc
	v_cmp_le_i32_e32 vcc, s53, v22
	s_or_b64 s[42:43], vcc, s[42:43]
	global_store_dwordx2 v[6:7], v[4:5], off
	s_andn2_b64 exec, exec, s[42:43]
	s_cbranch_execz .LBB4_8
.LBB4_13:                               ;   Parent Loop BB4_3 Depth=1
                                        ;     Parent Loop BB4_6 Depth=2
                                        ;       Parent Loop BB4_9 Depth=3
                                        ; =>      This Loop Header: Depth=4
                                        ;           Child Loop BB4_15 Depth 5
	s_and_b64 vcc, exec, s[2:3]
	s_cbranch_vccnz .LBB4_11
; %bb.14:                               ;   in Loop: Header=BB4_13 Depth=4
	v_mov_b32_e32 v4, s22
	v_ashrrev_i32_e32 v8, 31, v21
	v_mov_b32_e32 v5, s23
	v_mad_u64_u32 v[6:7], s[54:55], s24, v21, v[4:5]
	v_mul_lo_u32 v4, s25, v21
	v_mul_lo_u32 v5, s24, v8
	v_mov_b32_e32 v9, v3
	s_mov_b32 s54, 0
	v_mov_b32_e32 v8, v2
	v_add3_u32 v7, v4, v7, v5
	v_mov_b32_e32 v4, 0
	v_mov_b32_e32 v5, 0
.LBB4_15:                               ;   Parent Loop BB4_3 Depth=1
                                        ;     Parent Loop BB4_6 Depth=2
                                        ;       Parent Loop BB4_9 Depth=3
                                        ;         Parent Loop BB4_13 Depth=4
                                        ; =>        This Inner Loop Header: Depth=5
	global_load_dwordx2 v[23:24], v[8:9], off
	global_load_dwordx2 v[25:26], v[6:7], off
	v_add_co_u32_e32 v6, vcc, s26, v6
	v_addc_co_u32_e32 v7, vcc, v7, v13, vcc
	s_add_i32 s54, s54, 1
	v_add_co_u32_e32 v8, vcc, s34, v8
	s_cmp_lt_i32 s54, s49
	v_addc_co_u32_e32 v9, vcc, v9, v14, vcc
	s_waitcnt vmcnt(0)
	v_fma_f64 v[4:5], v[23:24], v[25:26], v[4:5]
	s_cbranch_scc1 .LBB4_15
	s_branch .LBB4_12
.LBB4_16:
	s_endpgm
	.section	.rodata,"a",@progbits
	.p2align	6, 0x0
	.amdhsa_kernel _ZN4RAJA8internal22HipKernelLauncherFixedILi1024ENS0_8LoopDataIN4camp5tupleIJNS_4SpanINS_9Iterators16numeric_iteratorIiiPiEEiEESA_SA_EEENS4_IJdEEENS3_9resources2v13HipEJZ4mainEUlRdE2_Z4mainEUliiiSG_E2_Z4mainEUliiSG_E2_EEENS0_24HipStatementListExecutorISK_NS3_4listIJNS_9statement4TileILl1ENS_10tile_fixedILl16EEENS_6policy3hip11hip_indexerINS_17iteration_mapping11StridedLoopILm0EEELNS_23kernel_sync_requirementE0EJNS_3hip11IndexGlobalILNS_9named_dimE1ELin1ELi0EEEEEEJNSO_ILl0ESQ_NST_ISW_LSX_0EJNSZ_ILS10_0ELin1ELi0EEEEEEJNSN_3ForILl1ENST_ISW_LSX_0EJNSZ_ILS10_1ELi0ELin1EEEEEEJNS15_ILl0ENST_ISW_LSX_0EJNSZ_ILS10_0ELi0ELin1EEEEEEJNSN_6LambdaILl0EJNSM_IJNS0_9LambdaArgINS0_18lambda_arg_param_tELl0EEEEEEEEENS15_ILl2ENSR_10sequential8seq_execEJNS1A_ILl1EJNSM_IJNS1B_INS0_16lambda_arg_seg_tELl0EEENS1B_IS1I_Ll1EEENS1B_IS1I_Ll2EEEEEES1E_EEEEEENS1A_ILl2EJNSM_IJS1J_S1K_EEES1E_EEEEEEEEEEEEEEEEEENS0_9LoopTypesINSM_IJvvvEEES1X_EEEEEEvT0_
		.amdhsa_group_segment_fixed_size 0
		.amdhsa_private_segment_fixed_size 0
		.amdhsa_kernarg_size 544
		.amdhsa_user_sgpr_count 6
		.amdhsa_user_sgpr_private_segment_buffer 1
		.amdhsa_user_sgpr_dispatch_ptr 0
		.amdhsa_user_sgpr_queue_ptr 0
		.amdhsa_user_sgpr_kernarg_segment_ptr 1
		.amdhsa_user_sgpr_dispatch_id 0
		.amdhsa_user_sgpr_flat_scratch_init 0
		.amdhsa_user_sgpr_private_segment_size 0
		.amdhsa_uses_dynamic_stack 0
		.amdhsa_system_sgpr_private_segment_wavefront_offset 0
		.amdhsa_system_sgpr_workgroup_id_x 1
		.amdhsa_system_sgpr_workgroup_id_y 1
		.amdhsa_system_sgpr_workgroup_id_z 0
		.amdhsa_system_sgpr_workgroup_info 0
		.amdhsa_system_vgpr_workitem_id 1
		.amdhsa_next_free_vgpr 27
		.amdhsa_next_free_sgpr 56
		.amdhsa_reserve_vcc 1
		.amdhsa_reserve_flat_scratch 0
		.amdhsa_float_round_mode_32 0
		.amdhsa_float_round_mode_16_64 0
		.amdhsa_float_denorm_mode_32 3
		.amdhsa_float_denorm_mode_16_64 3
		.amdhsa_dx10_clamp 1
		.amdhsa_ieee_mode 1
		.amdhsa_fp16_overflow 0
		.amdhsa_exception_fp_ieee_invalid_op 0
		.amdhsa_exception_fp_denorm_src 0
		.amdhsa_exception_fp_ieee_div_zero 0
		.amdhsa_exception_fp_ieee_overflow 0
		.amdhsa_exception_fp_ieee_underflow 0
		.amdhsa_exception_fp_ieee_inexact 0
		.amdhsa_exception_int_div_zero 0
	.end_amdhsa_kernel
	.section	.text._ZN4RAJA8internal22HipKernelLauncherFixedILi1024ENS0_8LoopDataIN4camp5tupleIJNS_4SpanINS_9Iterators16numeric_iteratorIiiPiEEiEESA_SA_EEENS4_IJdEEENS3_9resources2v13HipEJZ4mainEUlRdE2_Z4mainEUliiiSG_E2_Z4mainEUliiSG_E2_EEENS0_24HipStatementListExecutorISK_NS3_4listIJNS_9statement4TileILl1ENS_10tile_fixedILl16EEENS_6policy3hip11hip_indexerINS_17iteration_mapping11StridedLoopILm0EEELNS_23kernel_sync_requirementE0EJNS_3hip11IndexGlobalILNS_9named_dimE1ELin1ELi0EEEEEEJNSO_ILl0ESQ_NST_ISW_LSX_0EJNSZ_ILS10_0ELin1ELi0EEEEEEJNSN_3ForILl1ENST_ISW_LSX_0EJNSZ_ILS10_1ELi0ELin1EEEEEEJNS15_ILl0ENST_ISW_LSX_0EJNSZ_ILS10_0ELi0ELin1EEEEEEJNSN_6LambdaILl0EJNSM_IJNS0_9LambdaArgINS0_18lambda_arg_param_tELl0EEEEEEEEENS15_ILl2ENSR_10sequential8seq_execEJNS1A_ILl1EJNSM_IJNS1B_INS0_16lambda_arg_seg_tELl0EEENS1B_IS1I_Ll1EEENS1B_IS1I_Ll2EEEEEES1E_EEEEEENS1A_ILl2EJNSM_IJS1J_S1K_EEES1E_EEEEEEEEEEEEEEEEEENS0_9LoopTypesINSM_IJvvvEEES1X_EEEEEEvT0_,"axG",@progbits,_ZN4RAJA8internal22HipKernelLauncherFixedILi1024ENS0_8LoopDataIN4camp5tupleIJNS_4SpanINS_9Iterators16numeric_iteratorIiiPiEEiEESA_SA_EEENS4_IJdEEENS3_9resources2v13HipEJZ4mainEUlRdE2_Z4mainEUliiiSG_E2_Z4mainEUliiSG_E2_EEENS0_24HipStatementListExecutorISK_NS3_4listIJNS_9statement4TileILl1ENS_10tile_fixedILl16EEENS_6policy3hip11hip_indexerINS_17iteration_mapping11StridedLoopILm0EEELNS_23kernel_sync_requirementE0EJNS_3hip11IndexGlobalILNS_9named_dimE1ELin1ELi0EEEEEEJNSO_ILl0ESQ_NST_ISW_LSX_0EJNSZ_ILS10_0ELin1ELi0EEEEEEJNSN_3ForILl1ENST_ISW_LSX_0EJNSZ_ILS10_1ELi0ELin1EEEEEEJNS15_ILl0ENST_ISW_LSX_0EJNSZ_ILS10_0ELi0ELin1EEEEEEJNSN_6LambdaILl0EJNSM_IJNS0_9LambdaArgINS0_18lambda_arg_param_tELl0EEEEEEEEENS15_ILl2ENSR_10sequential8seq_execEJNS1A_ILl1EJNSM_IJNS1B_INS0_16lambda_arg_seg_tELl0EEENS1B_IS1I_Ll1EEENS1B_IS1I_Ll2EEEEEES1E_EEEEEENS1A_ILl2EJNSM_IJS1J_S1K_EEES1E_EEEEEEEEEEEEEEEEEENS0_9LoopTypesINSM_IJvvvEEES1X_EEEEEEvT0_,comdat
.Lfunc_end4:
	.size	_ZN4RAJA8internal22HipKernelLauncherFixedILi1024ENS0_8LoopDataIN4camp5tupleIJNS_4SpanINS_9Iterators16numeric_iteratorIiiPiEEiEESA_SA_EEENS4_IJdEEENS3_9resources2v13HipEJZ4mainEUlRdE2_Z4mainEUliiiSG_E2_Z4mainEUliiSG_E2_EEENS0_24HipStatementListExecutorISK_NS3_4listIJNS_9statement4TileILl1ENS_10tile_fixedILl16EEENS_6policy3hip11hip_indexerINS_17iteration_mapping11StridedLoopILm0EEELNS_23kernel_sync_requirementE0EJNS_3hip11IndexGlobalILNS_9named_dimE1ELin1ELi0EEEEEEJNSO_ILl0ESQ_NST_ISW_LSX_0EJNSZ_ILS10_0ELin1ELi0EEEEEEJNSN_3ForILl1ENST_ISW_LSX_0EJNSZ_ILS10_1ELi0ELin1EEEEEEJNS15_ILl0ENST_ISW_LSX_0EJNSZ_ILS10_0ELi0ELin1EEEEEEJNSN_6LambdaILl0EJNSM_IJNS0_9LambdaArgINS0_18lambda_arg_param_tELl0EEEEEEEEENS15_ILl2ENSR_10sequential8seq_execEJNS1A_ILl1EJNSM_IJNS1B_INS0_16lambda_arg_seg_tELl0EEENS1B_IS1I_Ll1EEENS1B_IS1I_Ll2EEEEEES1E_EEEEEENS1A_ILl2EJNSM_IJS1J_S1K_EEES1E_EEEEEEEEEEEEEEEEEENS0_9LoopTypesINSM_IJvvvEEES1X_EEEEEEvT0_, .Lfunc_end4-_ZN4RAJA8internal22HipKernelLauncherFixedILi1024ENS0_8LoopDataIN4camp5tupleIJNS_4SpanINS_9Iterators16numeric_iteratorIiiPiEEiEESA_SA_EEENS4_IJdEEENS3_9resources2v13HipEJZ4mainEUlRdE2_Z4mainEUliiiSG_E2_Z4mainEUliiSG_E2_EEENS0_24HipStatementListExecutorISK_NS3_4listIJNS_9statement4TileILl1ENS_10tile_fixedILl16EEENS_6policy3hip11hip_indexerINS_17iteration_mapping11StridedLoopILm0EEELNS_23kernel_sync_requirementE0EJNS_3hip11IndexGlobalILNS_9named_dimE1ELin1ELi0EEEEEEJNSO_ILl0ESQ_NST_ISW_LSX_0EJNSZ_ILS10_0ELin1ELi0EEEEEEJNSN_3ForILl1ENST_ISW_LSX_0EJNSZ_ILS10_1ELi0ELin1EEEEEEJNS15_ILl0ENST_ISW_LSX_0EJNSZ_ILS10_0ELi0ELin1EEEEEEJNSN_6LambdaILl0EJNSM_IJNS0_9LambdaArgINS0_18lambda_arg_param_tELl0EEEEEEEEENS15_ILl2ENSR_10sequential8seq_execEJNS1A_ILl1EJNSM_IJNS1B_INS0_16lambda_arg_seg_tELl0EEENS1B_IS1I_Ll1EEENS1B_IS1I_Ll2EEEEEES1E_EEEEEENS1A_ILl2EJNSM_IJS1J_S1K_EEES1E_EEEEEEEEEEEEEEEEEENS0_9LoopTypesINSM_IJvvvEEES1X_EEEEEEvT0_
                                        ; -- End function
	.set _ZN4RAJA8internal22HipKernelLauncherFixedILi1024ENS0_8LoopDataIN4camp5tupleIJNS_4SpanINS_9Iterators16numeric_iteratorIiiPiEEiEESA_SA_EEENS4_IJdEEENS3_9resources2v13HipEJZ4mainEUlRdE2_Z4mainEUliiiSG_E2_Z4mainEUliiSG_E2_EEENS0_24HipStatementListExecutorISK_NS3_4listIJNS_9statement4TileILl1ENS_10tile_fixedILl16EEENS_6policy3hip11hip_indexerINS_17iteration_mapping11StridedLoopILm0EEELNS_23kernel_sync_requirementE0EJNS_3hip11IndexGlobalILNS_9named_dimE1ELin1ELi0EEEEEEJNSO_ILl0ESQ_NST_ISW_LSX_0EJNSZ_ILS10_0ELin1ELi0EEEEEEJNSN_3ForILl1ENST_ISW_LSX_0EJNSZ_ILS10_1ELi0ELin1EEEEEEJNS15_ILl0ENST_ISW_LSX_0EJNSZ_ILS10_0ELi0ELin1EEEEEEJNSN_6LambdaILl0EJNSM_IJNS0_9LambdaArgINS0_18lambda_arg_param_tELl0EEEEEEEEENS15_ILl2ENSR_10sequential8seq_execEJNS1A_ILl1EJNSM_IJNS1B_INS0_16lambda_arg_seg_tELl0EEENS1B_IS1I_Ll1EEENS1B_IS1I_Ll2EEEEEES1E_EEEEEENS1A_ILl2EJNSM_IJS1J_S1K_EEES1E_EEEEEEEEEEEEEEEEEENS0_9LoopTypesINSM_IJvvvEEES1X_EEEEEEvT0_.num_vgpr, 27
	.set _ZN4RAJA8internal22HipKernelLauncherFixedILi1024ENS0_8LoopDataIN4camp5tupleIJNS_4SpanINS_9Iterators16numeric_iteratorIiiPiEEiEESA_SA_EEENS4_IJdEEENS3_9resources2v13HipEJZ4mainEUlRdE2_Z4mainEUliiiSG_E2_Z4mainEUliiSG_E2_EEENS0_24HipStatementListExecutorISK_NS3_4listIJNS_9statement4TileILl1ENS_10tile_fixedILl16EEENS_6policy3hip11hip_indexerINS_17iteration_mapping11StridedLoopILm0EEELNS_23kernel_sync_requirementE0EJNS_3hip11IndexGlobalILNS_9named_dimE1ELin1ELi0EEEEEEJNSO_ILl0ESQ_NST_ISW_LSX_0EJNSZ_ILS10_0ELin1ELi0EEEEEEJNSN_3ForILl1ENST_ISW_LSX_0EJNSZ_ILS10_1ELi0ELin1EEEEEEJNS15_ILl0ENST_ISW_LSX_0EJNSZ_ILS10_0ELi0ELin1EEEEEEJNSN_6LambdaILl0EJNSM_IJNS0_9LambdaArgINS0_18lambda_arg_param_tELl0EEEEEEEEENS15_ILl2ENSR_10sequential8seq_execEJNS1A_ILl1EJNSM_IJNS1B_INS0_16lambda_arg_seg_tELl0EEENS1B_IS1I_Ll1EEENS1B_IS1I_Ll2EEEEEES1E_EEEEEENS1A_ILl2EJNSM_IJS1J_S1K_EEES1E_EEEEEEEEEEEEEEEEEENS0_9LoopTypesINSM_IJvvvEEES1X_EEEEEEvT0_.num_agpr, 0
	.set _ZN4RAJA8internal22HipKernelLauncherFixedILi1024ENS0_8LoopDataIN4camp5tupleIJNS_4SpanINS_9Iterators16numeric_iteratorIiiPiEEiEESA_SA_EEENS4_IJdEEENS3_9resources2v13HipEJZ4mainEUlRdE2_Z4mainEUliiiSG_E2_Z4mainEUliiSG_E2_EEENS0_24HipStatementListExecutorISK_NS3_4listIJNS_9statement4TileILl1ENS_10tile_fixedILl16EEENS_6policy3hip11hip_indexerINS_17iteration_mapping11StridedLoopILm0EEELNS_23kernel_sync_requirementE0EJNS_3hip11IndexGlobalILNS_9named_dimE1ELin1ELi0EEEEEEJNSO_ILl0ESQ_NST_ISW_LSX_0EJNSZ_ILS10_0ELin1ELi0EEEEEEJNSN_3ForILl1ENST_ISW_LSX_0EJNSZ_ILS10_1ELi0ELin1EEEEEEJNS15_ILl0ENST_ISW_LSX_0EJNSZ_ILS10_0ELi0ELin1EEEEEEJNSN_6LambdaILl0EJNSM_IJNS0_9LambdaArgINS0_18lambda_arg_param_tELl0EEEEEEEEENS15_ILl2ENSR_10sequential8seq_execEJNS1A_ILl1EJNSM_IJNS1B_INS0_16lambda_arg_seg_tELl0EEENS1B_IS1I_Ll1EEENS1B_IS1I_Ll2EEEEEES1E_EEEEEENS1A_ILl2EJNSM_IJS1J_S1K_EEES1E_EEEEEEEEEEEEEEEEEENS0_9LoopTypesINSM_IJvvvEEES1X_EEEEEEvT0_.numbered_sgpr, 56
	.set _ZN4RAJA8internal22HipKernelLauncherFixedILi1024ENS0_8LoopDataIN4camp5tupleIJNS_4SpanINS_9Iterators16numeric_iteratorIiiPiEEiEESA_SA_EEENS4_IJdEEENS3_9resources2v13HipEJZ4mainEUlRdE2_Z4mainEUliiiSG_E2_Z4mainEUliiSG_E2_EEENS0_24HipStatementListExecutorISK_NS3_4listIJNS_9statement4TileILl1ENS_10tile_fixedILl16EEENS_6policy3hip11hip_indexerINS_17iteration_mapping11StridedLoopILm0EEELNS_23kernel_sync_requirementE0EJNS_3hip11IndexGlobalILNS_9named_dimE1ELin1ELi0EEEEEEJNSO_ILl0ESQ_NST_ISW_LSX_0EJNSZ_ILS10_0ELin1ELi0EEEEEEJNSN_3ForILl1ENST_ISW_LSX_0EJNSZ_ILS10_1ELi0ELin1EEEEEEJNS15_ILl0ENST_ISW_LSX_0EJNSZ_ILS10_0ELi0ELin1EEEEEEJNSN_6LambdaILl0EJNSM_IJNS0_9LambdaArgINS0_18lambda_arg_param_tELl0EEEEEEEEENS15_ILl2ENSR_10sequential8seq_execEJNS1A_ILl1EJNSM_IJNS1B_INS0_16lambda_arg_seg_tELl0EEENS1B_IS1I_Ll1EEENS1B_IS1I_Ll2EEEEEES1E_EEEEEENS1A_ILl2EJNSM_IJS1J_S1K_EEES1E_EEEEEEEEEEEEEEEEEENS0_9LoopTypesINSM_IJvvvEEES1X_EEEEEEvT0_.num_named_barrier, 0
	.set _ZN4RAJA8internal22HipKernelLauncherFixedILi1024ENS0_8LoopDataIN4camp5tupleIJNS_4SpanINS_9Iterators16numeric_iteratorIiiPiEEiEESA_SA_EEENS4_IJdEEENS3_9resources2v13HipEJZ4mainEUlRdE2_Z4mainEUliiiSG_E2_Z4mainEUliiSG_E2_EEENS0_24HipStatementListExecutorISK_NS3_4listIJNS_9statement4TileILl1ENS_10tile_fixedILl16EEENS_6policy3hip11hip_indexerINS_17iteration_mapping11StridedLoopILm0EEELNS_23kernel_sync_requirementE0EJNS_3hip11IndexGlobalILNS_9named_dimE1ELin1ELi0EEEEEEJNSO_ILl0ESQ_NST_ISW_LSX_0EJNSZ_ILS10_0ELin1ELi0EEEEEEJNSN_3ForILl1ENST_ISW_LSX_0EJNSZ_ILS10_1ELi0ELin1EEEEEEJNS15_ILl0ENST_ISW_LSX_0EJNSZ_ILS10_0ELi0ELin1EEEEEEJNSN_6LambdaILl0EJNSM_IJNS0_9LambdaArgINS0_18lambda_arg_param_tELl0EEEEEEEEENS15_ILl2ENSR_10sequential8seq_execEJNS1A_ILl1EJNSM_IJNS1B_INS0_16lambda_arg_seg_tELl0EEENS1B_IS1I_Ll1EEENS1B_IS1I_Ll2EEEEEES1E_EEEEEENS1A_ILl2EJNSM_IJS1J_S1K_EEES1E_EEEEEEEEEEEEEEEEEENS0_9LoopTypesINSM_IJvvvEEES1X_EEEEEEvT0_.private_seg_size, 0
	.set _ZN4RAJA8internal22HipKernelLauncherFixedILi1024ENS0_8LoopDataIN4camp5tupleIJNS_4SpanINS_9Iterators16numeric_iteratorIiiPiEEiEESA_SA_EEENS4_IJdEEENS3_9resources2v13HipEJZ4mainEUlRdE2_Z4mainEUliiiSG_E2_Z4mainEUliiSG_E2_EEENS0_24HipStatementListExecutorISK_NS3_4listIJNS_9statement4TileILl1ENS_10tile_fixedILl16EEENS_6policy3hip11hip_indexerINS_17iteration_mapping11StridedLoopILm0EEELNS_23kernel_sync_requirementE0EJNS_3hip11IndexGlobalILNS_9named_dimE1ELin1ELi0EEEEEEJNSO_ILl0ESQ_NST_ISW_LSX_0EJNSZ_ILS10_0ELin1ELi0EEEEEEJNSN_3ForILl1ENST_ISW_LSX_0EJNSZ_ILS10_1ELi0ELin1EEEEEEJNS15_ILl0ENST_ISW_LSX_0EJNSZ_ILS10_0ELi0ELin1EEEEEEJNSN_6LambdaILl0EJNSM_IJNS0_9LambdaArgINS0_18lambda_arg_param_tELl0EEEEEEEEENS15_ILl2ENSR_10sequential8seq_execEJNS1A_ILl1EJNSM_IJNS1B_INS0_16lambda_arg_seg_tELl0EEENS1B_IS1I_Ll1EEENS1B_IS1I_Ll2EEEEEES1E_EEEEEENS1A_ILl2EJNSM_IJS1J_S1K_EEES1E_EEEEEEEEEEEEEEEEEENS0_9LoopTypesINSM_IJvvvEEES1X_EEEEEEvT0_.uses_vcc, 1
	.set _ZN4RAJA8internal22HipKernelLauncherFixedILi1024ENS0_8LoopDataIN4camp5tupleIJNS_4SpanINS_9Iterators16numeric_iteratorIiiPiEEiEESA_SA_EEENS4_IJdEEENS3_9resources2v13HipEJZ4mainEUlRdE2_Z4mainEUliiiSG_E2_Z4mainEUliiSG_E2_EEENS0_24HipStatementListExecutorISK_NS3_4listIJNS_9statement4TileILl1ENS_10tile_fixedILl16EEENS_6policy3hip11hip_indexerINS_17iteration_mapping11StridedLoopILm0EEELNS_23kernel_sync_requirementE0EJNS_3hip11IndexGlobalILNS_9named_dimE1ELin1ELi0EEEEEEJNSO_ILl0ESQ_NST_ISW_LSX_0EJNSZ_ILS10_0ELin1ELi0EEEEEEJNSN_3ForILl1ENST_ISW_LSX_0EJNSZ_ILS10_1ELi0ELin1EEEEEEJNS15_ILl0ENST_ISW_LSX_0EJNSZ_ILS10_0ELi0ELin1EEEEEEJNSN_6LambdaILl0EJNSM_IJNS0_9LambdaArgINS0_18lambda_arg_param_tELl0EEEEEEEEENS15_ILl2ENSR_10sequential8seq_execEJNS1A_ILl1EJNSM_IJNS1B_INS0_16lambda_arg_seg_tELl0EEENS1B_IS1I_Ll1EEENS1B_IS1I_Ll2EEEEEES1E_EEEEEENS1A_ILl2EJNSM_IJS1J_S1K_EEES1E_EEEEEEEEEEEEEEEEEENS0_9LoopTypesINSM_IJvvvEEES1X_EEEEEEvT0_.uses_flat_scratch, 0
	.set _ZN4RAJA8internal22HipKernelLauncherFixedILi1024ENS0_8LoopDataIN4camp5tupleIJNS_4SpanINS_9Iterators16numeric_iteratorIiiPiEEiEESA_SA_EEENS4_IJdEEENS3_9resources2v13HipEJZ4mainEUlRdE2_Z4mainEUliiiSG_E2_Z4mainEUliiSG_E2_EEENS0_24HipStatementListExecutorISK_NS3_4listIJNS_9statement4TileILl1ENS_10tile_fixedILl16EEENS_6policy3hip11hip_indexerINS_17iteration_mapping11StridedLoopILm0EEELNS_23kernel_sync_requirementE0EJNS_3hip11IndexGlobalILNS_9named_dimE1ELin1ELi0EEEEEEJNSO_ILl0ESQ_NST_ISW_LSX_0EJNSZ_ILS10_0ELin1ELi0EEEEEEJNSN_3ForILl1ENST_ISW_LSX_0EJNSZ_ILS10_1ELi0ELin1EEEEEEJNS15_ILl0ENST_ISW_LSX_0EJNSZ_ILS10_0ELi0ELin1EEEEEEJNSN_6LambdaILl0EJNSM_IJNS0_9LambdaArgINS0_18lambda_arg_param_tELl0EEEEEEEEENS15_ILl2ENSR_10sequential8seq_execEJNS1A_ILl1EJNSM_IJNS1B_INS0_16lambda_arg_seg_tELl0EEENS1B_IS1I_Ll1EEENS1B_IS1I_Ll2EEEEEES1E_EEEEEENS1A_ILl2EJNSM_IJS1J_S1K_EEES1E_EEEEEEEEEEEEEEEEEENS0_9LoopTypesINSM_IJvvvEEES1X_EEEEEEvT0_.has_dyn_sized_stack, 0
	.set _ZN4RAJA8internal22HipKernelLauncherFixedILi1024ENS0_8LoopDataIN4camp5tupleIJNS_4SpanINS_9Iterators16numeric_iteratorIiiPiEEiEESA_SA_EEENS4_IJdEEENS3_9resources2v13HipEJZ4mainEUlRdE2_Z4mainEUliiiSG_E2_Z4mainEUliiSG_E2_EEENS0_24HipStatementListExecutorISK_NS3_4listIJNS_9statement4TileILl1ENS_10tile_fixedILl16EEENS_6policy3hip11hip_indexerINS_17iteration_mapping11StridedLoopILm0EEELNS_23kernel_sync_requirementE0EJNS_3hip11IndexGlobalILNS_9named_dimE1ELin1ELi0EEEEEEJNSO_ILl0ESQ_NST_ISW_LSX_0EJNSZ_ILS10_0ELin1ELi0EEEEEEJNSN_3ForILl1ENST_ISW_LSX_0EJNSZ_ILS10_1ELi0ELin1EEEEEEJNS15_ILl0ENST_ISW_LSX_0EJNSZ_ILS10_0ELi0ELin1EEEEEEJNSN_6LambdaILl0EJNSM_IJNS0_9LambdaArgINS0_18lambda_arg_param_tELl0EEEEEEEEENS15_ILl2ENSR_10sequential8seq_execEJNS1A_ILl1EJNSM_IJNS1B_INS0_16lambda_arg_seg_tELl0EEENS1B_IS1I_Ll1EEENS1B_IS1I_Ll2EEEEEES1E_EEEEEENS1A_ILl2EJNSM_IJS1J_S1K_EEES1E_EEEEEEEEEEEEEEEEEENS0_9LoopTypesINSM_IJvvvEEES1X_EEEEEEvT0_.has_recursion, 0
	.set _ZN4RAJA8internal22HipKernelLauncherFixedILi1024ENS0_8LoopDataIN4camp5tupleIJNS_4SpanINS_9Iterators16numeric_iteratorIiiPiEEiEESA_SA_EEENS4_IJdEEENS3_9resources2v13HipEJZ4mainEUlRdE2_Z4mainEUliiiSG_E2_Z4mainEUliiSG_E2_EEENS0_24HipStatementListExecutorISK_NS3_4listIJNS_9statement4TileILl1ENS_10tile_fixedILl16EEENS_6policy3hip11hip_indexerINS_17iteration_mapping11StridedLoopILm0EEELNS_23kernel_sync_requirementE0EJNS_3hip11IndexGlobalILNS_9named_dimE1ELin1ELi0EEEEEEJNSO_ILl0ESQ_NST_ISW_LSX_0EJNSZ_ILS10_0ELin1ELi0EEEEEEJNSN_3ForILl1ENST_ISW_LSX_0EJNSZ_ILS10_1ELi0ELin1EEEEEEJNS15_ILl0ENST_ISW_LSX_0EJNSZ_ILS10_0ELi0ELin1EEEEEEJNSN_6LambdaILl0EJNSM_IJNS0_9LambdaArgINS0_18lambda_arg_param_tELl0EEEEEEEEENS15_ILl2ENSR_10sequential8seq_execEJNS1A_ILl1EJNSM_IJNS1B_INS0_16lambda_arg_seg_tELl0EEENS1B_IS1I_Ll1EEENS1B_IS1I_Ll2EEEEEES1E_EEEEEENS1A_ILl2EJNSM_IJS1J_S1K_EEES1E_EEEEEEEEEEEEEEEEEENS0_9LoopTypesINSM_IJvvvEEES1X_EEEEEEvT0_.has_indirect_call, 0
	.section	.AMDGPU.csdata,"",@progbits
; Kernel info:
; codeLenInByte = 868
; TotalNumSgprs: 60
; NumVgprs: 27
; ScratchSize: 0
; MemoryBound: 0
; FloatMode: 240
; IeeeMode: 1
; LDSByteSize: 0 bytes/workgroup (compile time only)
; SGPRBlocks: 7
; VGPRBlocks: 6
; NumSGPRsForWavesPerEU: 60
; NumVGPRsForWavesPerEU: 27
; Occupancy: 9
; WaveLimiterHint : 0
; COMPUTE_PGM_RSRC2:SCRATCH_EN: 0
; COMPUTE_PGM_RSRC2:USER_SGPR: 6
; COMPUTE_PGM_RSRC2:TRAP_HANDLER: 0
; COMPUTE_PGM_RSRC2:TGID_X_EN: 1
; COMPUTE_PGM_RSRC2:TGID_Y_EN: 1
; COMPUTE_PGM_RSRC2:TGID_Z_EN: 0
; COMPUTE_PGM_RSRC2:TIDIG_COMP_CNT: 1
	.section	.AMDGPU.gpr_maximums,"",@progbits
	.set amdgpu.max_num_vgpr, 0
	.set amdgpu.max_num_agpr, 0
	.set amdgpu.max_num_sgpr, 0
	.section	.AMDGPU.csdata,"",@progbits
	.type	__hip_cuid_95da7122c48c8f53,@object ; @__hip_cuid_95da7122c48c8f53
	.section	.bss,"aw",@nobits
	.globl	__hip_cuid_95da7122c48c8f53
__hip_cuid_95da7122c48c8f53:
	.byte	0                               ; 0x0
	.size	__hip_cuid_95da7122c48c8f53, 1

	.ident	"AMD clang version 22.0.0git (https://github.com/RadeonOpenCompute/llvm-project roc-7.2.4 26084 f58b06dce1f9c15707c5f808fd002e18c2accf7e)"
	.section	".note.GNU-stack","",@progbits
	.addrsig
	.addrsig_sym __hip_cuid_95da7122c48c8f53
	.amdgpu_metadata
---
amdhsa.kernels:
  - .args:
      - .offset:         0
        .size:           4
        .value_kind:     by_value
      - .address_space:  global
        .offset:         8
        .size:           8
        .value_kind:     global_buffer
      - .address_space:  global
        .offset:         16
        .size:           8
        .value_kind:     global_buffer
      - .address_space:  global
        .offset:         24
        .size:           8
        .value_kind:     global_buffer
      - .offset:         32
        .size:           4
        .value_kind:     hidden_block_count_x
      - .offset:         36
        .size:           4
        .value_kind:     hidden_block_count_y
      - .offset:         40
        .size:           4
        .value_kind:     hidden_block_count_z
      - .offset:         44
        .size:           2
        .value_kind:     hidden_group_size_x
      - .offset:         46
        .size:           2
        .value_kind:     hidden_group_size_y
      - .offset:         48
        .size:           2
        .value_kind:     hidden_group_size_z
      - .offset:         50
        .size:           2
        .value_kind:     hidden_remainder_x
      - .offset:         52
        .size:           2
        .value_kind:     hidden_remainder_y
      - .offset:         54
        .size:           2
        .value_kind:     hidden_remainder_z
      - .offset:         72
        .size:           8
        .value_kind:     hidden_global_offset_x
      - .offset:         80
        .size:           8
        .value_kind:     hidden_global_offset_y
      - .offset:         88
        .size:           8
        .value_kind:     hidden_global_offset_z
      - .offset:         96
        .size:           2
        .value_kind:     hidden_grid_dims
    .group_segment_fixed_size: 0
    .kernarg_segment_align: 8
    .kernarg_segment_size: 288
    .language:       OpenCL C
    .language_version:
      - 2
      - 0
    .max_flat_workgroup_size: 1024
    .name:           _Z13matMultKerneliPdS_S_
    .private_segment_fixed_size: 0
    .sgpr_count:     13
    .sgpr_spill_count: 0
    .symbol:         _Z13matMultKerneliPdS_S_.kd
    .uniform_work_group_size: 1
    .uses_dynamic_stack: false
    .vgpr_count:     13
    .vgpr_spill_count: 0
    .wavefront_size: 64
  - .args:
      - .offset:         0
        .size:           272
        .value_kind:     by_value
      - .offset:         272
        .size:           4
        .value_kind:     hidden_block_count_x
      - .offset:         276
        .size:           4
        .value_kind:     hidden_block_count_y
      - .offset:         280
        .size:           4
        .value_kind:     hidden_block_count_z
      - .offset:         284
        .size:           2
        .value_kind:     hidden_group_size_x
      - .offset:         286
        .size:           2
        .value_kind:     hidden_group_size_y
      - .offset:         288
        .size:           2
        .value_kind:     hidden_group_size_z
      - .offset:         290
        .size:           2
        .value_kind:     hidden_remainder_x
      - .offset:         292
        .size:           2
        .value_kind:     hidden_remainder_y
      - .offset:         294
        .size:           2
        .value_kind:     hidden_remainder_z
      - .offset:         312
        .size:           8
        .value_kind:     hidden_global_offset_x
      - .offset:         320
        .size:           8
        .value_kind:     hidden_global_offset_y
      - .offset:         328
        .size:           8
        .value_kind:     hidden_global_offset_z
      - .offset:         336
        .size:           2
        .value_kind:     hidden_grid_dims
    .group_segment_fixed_size: 0
    .kernarg_segment_align: 8
    .kernarg_segment_size: 528
    .language:       OpenCL C
    .language_version:
      - 2
      - 0
    .max_flat_workgroup_size: 1024
    .name:           _ZN4RAJA8internal22HipKernelLauncherFixedILi1024ENS0_8LoopDataIN4camp5tupleIJNS_4SpanINS_9Iterators16numeric_iteratorIiiPiEEiEESA_EEENS4_IJEEENS3_9resources2v13HipEJZ4mainEUliiE0_EEENS0_24HipStatementListExecutorISH_NS3_4listIJNS_9statement3ForILl1ENS_6policy3hip11hip_indexerINS_17iteration_mapping11StridedLoopILm0EEELNS_23kernel_sync_requirementE0EJNS_3hip11IndexGlobalILNS_9named_dimE0ELin1ELi0EEEEEEJNSL_ILl0ENSO_ISR_LSS_0EJNSU_ILSV_0ELi0ELin1EEEEEEJNSK_6LambdaILl0EJEEEEEEEEEEEENS0_9LoopTypesINSJ_IJvvEEES16_EEEEEEvT0_
    .private_segment_fixed_size: 0
    .sgpr_count:     50
    .sgpr_spill_count: 0
    .symbol:         _ZN4RAJA8internal22HipKernelLauncherFixedILi1024ENS0_8LoopDataIN4camp5tupleIJNS_4SpanINS_9Iterators16numeric_iteratorIiiPiEEiEESA_EEENS4_IJEEENS3_9resources2v13HipEJZ4mainEUliiE0_EEENS0_24HipStatementListExecutorISH_NS3_4listIJNS_9statement3ForILl1ENS_6policy3hip11hip_indexerINS_17iteration_mapping11StridedLoopILm0EEELNS_23kernel_sync_requirementE0EJNS_3hip11IndexGlobalILNS_9named_dimE0ELin1ELi0EEEEEEJNSL_ILl0ENSO_ISR_LSS_0EJNSU_ILSV_0ELi0ELin1EEEEEEJNSK_6LambdaILl0EJEEEEEEEEEEEENS0_9LoopTypesINSJ_IJvvEEES16_EEEEEEvT0_.kd
    .uniform_work_group_size: 1
    .uses_dynamic_stack: false
    .vgpr_count:     35
    .vgpr_spill_count: 0
    .wavefront_size: 64
  - .args:
      - .offset:         0
        .size:           272
        .value_kind:     by_value
      - .offset:         272
        .size:           4
        .value_kind:     hidden_block_count_x
      - .offset:         276
        .size:           4
        .value_kind:     hidden_block_count_y
      - .offset:         280
        .size:           4
        .value_kind:     hidden_block_count_z
      - .offset:         284
        .size:           2
        .value_kind:     hidden_group_size_x
      - .offset:         286
        .size:           2
        .value_kind:     hidden_group_size_y
      - .offset:         288
        .size:           2
        .value_kind:     hidden_group_size_z
      - .offset:         290
        .size:           2
        .value_kind:     hidden_remainder_x
      - .offset:         292
        .size:           2
        .value_kind:     hidden_remainder_y
      - .offset:         294
        .size:           2
        .value_kind:     hidden_remainder_z
      - .offset:         312
        .size:           8
        .value_kind:     hidden_global_offset_x
      - .offset:         320
        .size:           8
        .value_kind:     hidden_global_offset_y
      - .offset:         328
        .size:           8
        .value_kind:     hidden_global_offset_z
      - .offset:         336
        .size:           2
        .value_kind:     hidden_grid_dims
    .group_segment_fixed_size: 0
    .kernarg_segment_align: 8
    .kernarg_segment_size: 528
    .language:       OpenCL C
    .language_version:
      - 2
      - 0
    .max_flat_workgroup_size: 1024
    .name:           _ZN4RAJA8internal22HipKernelLauncherFixedILi1024ENS0_8LoopDataIN4camp5tupleIJNS_4SpanINS_9Iterators16numeric_iteratorIiiPiEEiEESA_EEENS4_IJEEENS3_9resources2v13HipEJZ4mainEUliiE1_EEENS0_24HipStatementListExecutorISH_NS3_4listIJNS_9statement4TileILl1ENS_10tile_fixedILl16EEENS_6policy3hip11hip_indexerINS_17iteration_mapping11StridedLoopILm0EEELNS_23kernel_sync_requirementE0EJNS_3hip11IndexGlobalILNS_9named_dimE1ELin1ELi0EEEEEEJNSL_ILl0ESN_NSQ_IST_LSU_0EJNSW_ILSX_0ELin1ELi0EEEEEEJNSK_3ForILl1ENSQ_IST_LSU_0EJNSW_ILSX_1ELi0ELin1EEEEEEJNS12_ILl0ENSQ_IST_LSU_0EJNSW_ILSX_0ELi0ELin1EEEEEEJNSK_6LambdaILl0EJEEEEEEEEEEEEEEEEEENS0_9LoopTypesINSJ_IJvvEEES1F_EEEEEEvT0_
    .private_segment_fixed_size: 0
    .sgpr_count:     76
    .sgpr_spill_count: 0
    .symbol:         _ZN4RAJA8internal22HipKernelLauncherFixedILi1024ENS0_8LoopDataIN4camp5tupleIJNS_4SpanINS_9Iterators16numeric_iteratorIiiPiEEiEESA_EEENS4_IJEEENS3_9resources2v13HipEJZ4mainEUliiE1_EEENS0_24HipStatementListExecutorISH_NS3_4listIJNS_9statement4TileILl1ENS_10tile_fixedILl16EEENS_6policy3hip11hip_indexerINS_17iteration_mapping11StridedLoopILm0EEELNS_23kernel_sync_requirementE0EJNS_3hip11IndexGlobalILNS_9named_dimE1ELin1ELi0EEEEEEJNSL_ILl0ESN_NSQ_IST_LSU_0EJNSW_ILSX_0ELin1ELi0EEEEEEJNSK_3ForILl1ENSQ_IST_LSU_0EJNSW_ILSX_1ELi0ELin1EEEEEEJNS12_ILl0ENSQ_IST_LSU_0EJNSW_ILSX_0ELi0ELin1EEEEEEJNSK_6LambdaILl0EJEEEEEEEEEEEEEEEEEENS0_9LoopTypesINSJ_IJvvEEES1F_EEEEEEvT0_.kd
    .uniform_work_group_size: 1
    .uses_dynamic_stack: false
    .vgpr_count:     43
    .vgpr_spill_count: 0
    .wavefront_size: 64
  - .args:
      - .offset:         0
        .size:           288
        .value_kind:     by_value
      - .offset:         288
        .size:           4
        .value_kind:     hidden_block_count_x
      - .offset:         292
        .size:           4
        .value_kind:     hidden_block_count_y
      - .offset:         296
        .size:           4
        .value_kind:     hidden_block_count_z
      - .offset:         300
        .size:           2
        .value_kind:     hidden_group_size_x
      - .offset:         302
        .size:           2
        .value_kind:     hidden_group_size_y
      - .offset:         304
        .size:           2
        .value_kind:     hidden_group_size_z
      - .offset:         306
        .size:           2
        .value_kind:     hidden_remainder_x
      - .offset:         308
        .size:           2
        .value_kind:     hidden_remainder_y
      - .offset:         310
        .size:           2
        .value_kind:     hidden_remainder_z
      - .offset:         328
        .size:           8
        .value_kind:     hidden_global_offset_x
      - .offset:         336
        .size:           8
        .value_kind:     hidden_global_offset_y
      - .offset:         344
        .size:           8
        .value_kind:     hidden_global_offset_z
      - .offset:         352
        .size:           2
        .value_kind:     hidden_grid_dims
    .group_segment_fixed_size: 0
    .kernarg_segment_align: 8
    .kernarg_segment_size: 544
    .language:       OpenCL C
    .language_version:
      - 2
      - 0
    .max_flat_workgroup_size: 1024
    .name:           _ZN4RAJA8internal22HipKernelLauncherFixedILi1024ENS0_8LoopDataIN4camp5tupleIJNS_4SpanINS_9Iterators16numeric_iteratorIiiPiEEiEESA_SA_EEENS4_IJdEEENS3_9resources2v13HipEJZ4mainEUlRdE1_Z4mainEUliiiSG_E1_Z4mainEUliiSG_E1_EEENS0_24HipStatementListExecutorISK_NS3_4listIJNS_9statement3ForILl1ENS_6policy3hip11hip_indexerINS_17iteration_mapping11StridedLoopILm0EEELNS_23kernel_sync_requirementE0EJNS_3hip11IndexGlobalILNS_9named_dimE0ELin1ELi0EEEEEEJNSO_ILl0ENSR_ISU_LSV_0EJNSX_ILSY_0ELi0ELin1EEEEEEJNSN_6LambdaILl0EJNSM_IJNS0_9LambdaArgINS0_18lambda_arg_param_tELl0EEEEEEEEENSO_ILl2ENSP_10sequential8seq_execEJNS13_ILl1EJEEEEEENS13_ILl2EJNSM_IJNS14_INS0_16lambda_arg_seg_tELl0EEENS14_IS1D_Ll1EEEEEES17_EEEEEEEEEEEENS0_9LoopTypesINSM_IJvvvEEES1M_EEEEEEvT0_
    .private_segment_fixed_size: 0
    .sgpr_count:     44
    .sgpr_spill_count: 0
    .symbol:         _ZN4RAJA8internal22HipKernelLauncherFixedILi1024ENS0_8LoopDataIN4camp5tupleIJNS_4SpanINS_9Iterators16numeric_iteratorIiiPiEEiEESA_SA_EEENS4_IJdEEENS3_9resources2v13HipEJZ4mainEUlRdE1_Z4mainEUliiiSG_E1_Z4mainEUliiSG_E1_EEENS0_24HipStatementListExecutorISK_NS3_4listIJNS_9statement3ForILl1ENS_6policy3hip11hip_indexerINS_17iteration_mapping11StridedLoopILm0EEELNS_23kernel_sync_requirementE0EJNS_3hip11IndexGlobalILNS_9named_dimE0ELin1ELi0EEEEEEJNSO_ILl0ENSR_ISU_LSV_0EJNSX_ILSY_0ELi0ELin1EEEEEEJNSN_6LambdaILl0EJNSM_IJNS0_9LambdaArgINS0_18lambda_arg_param_tELl0EEEEEEEEENSO_ILl2ENSP_10sequential8seq_execEJNS13_ILl1EJEEEEEENS13_ILl2EJNSM_IJNS14_INS0_16lambda_arg_seg_tELl0EEENS14_IS1D_Ll1EEEEEES17_EEEEEEEEEEEENS0_9LoopTypesINSM_IJvvvEEES1M_EEEEEEvT0_.kd
    .uniform_work_group_size: 1
    .uses_dynamic_stack: false
    .vgpr_count:     16
    .vgpr_spill_count: 0
    .wavefront_size: 64
  - .args:
      - .offset:         0
        .size:           288
        .value_kind:     by_value
      - .offset:         288
        .size:           4
        .value_kind:     hidden_block_count_x
      - .offset:         292
        .size:           4
        .value_kind:     hidden_block_count_y
      - .offset:         296
        .size:           4
        .value_kind:     hidden_block_count_z
      - .offset:         300
        .size:           2
        .value_kind:     hidden_group_size_x
      - .offset:         302
        .size:           2
        .value_kind:     hidden_group_size_y
      - .offset:         304
        .size:           2
        .value_kind:     hidden_group_size_z
      - .offset:         306
        .size:           2
        .value_kind:     hidden_remainder_x
      - .offset:         308
        .size:           2
        .value_kind:     hidden_remainder_y
      - .offset:         310
        .size:           2
        .value_kind:     hidden_remainder_z
      - .offset:         328
        .size:           8
        .value_kind:     hidden_global_offset_x
      - .offset:         336
        .size:           8
        .value_kind:     hidden_global_offset_y
      - .offset:         344
        .size:           8
        .value_kind:     hidden_global_offset_z
      - .offset:         352
        .size:           2
        .value_kind:     hidden_grid_dims
    .group_segment_fixed_size: 0
    .kernarg_segment_align: 8
    .kernarg_segment_size: 544
    .language:       OpenCL C
    .language_version:
      - 2
      - 0
    .max_flat_workgroup_size: 1024
    .name:           _ZN4RAJA8internal22HipKernelLauncherFixedILi1024ENS0_8LoopDataIN4camp5tupleIJNS_4SpanINS_9Iterators16numeric_iteratorIiiPiEEiEESA_SA_EEENS4_IJdEEENS3_9resources2v13HipEJZ4mainEUlRdE2_Z4mainEUliiiSG_E2_Z4mainEUliiSG_E2_EEENS0_24HipStatementListExecutorISK_NS3_4listIJNS_9statement4TileILl1ENS_10tile_fixedILl16EEENS_6policy3hip11hip_indexerINS_17iteration_mapping11StridedLoopILm0EEELNS_23kernel_sync_requirementE0EJNS_3hip11IndexGlobalILNS_9named_dimE1ELin1ELi0EEEEEEJNSO_ILl0ESQ_NST_ISW_LSX_0EJNSZ_ILS10_0ELin1ELi0EEEEEEJNSN_3ForILl1ENST_ISW_LSX_0EJNSZ_ILS10_1ELi0ELin1EEEEEEJNS15_ILl0ENST_ISW_LSX_0EJNSZ_ILS10_0ELi0ELin1EEEEEEJNSN_6LambdaILl0EJNSM_IJNS0_9LambdaArgINS0_18lambda_arg_param_tELl0EEEEEEEEENS15_ILl2ENSR_10sequential8seq_execEJNS1A_ILl1EJNSM_IJNS1B_INS0_16lambda_arg_seg_tELl0EEENS1B_IS1I_Ll1EEENS1B_IS1I_Ll2EEEEEES1E_EEEEEENS1A_ILl2EJNSM_IJS1J_S1K_EEES1E_EEEEEEEEEEEEEEEEEENS0_9LoopTypesINSM_IJvvvEEES1X_EEEEEEvT0_
    .private_segment_fixed_size: 0
    .sgpr_count:     60
    .sgpr_spill_count: 0
    .symbol:         _ZN4RAJA8internal22HipKernelLauncherFixedILi1024ENS0_8LoopDataIN4camp5tupleIJNS_4SpanINS_9Iterators16numeric_iteratorIiiPiEEiEESA_SA_EEENS4_IJdEEENS3_9resources2v13HipEJZ4mainEUlRdE2_Z4mainEUliiiSG_E2_Z4mainEUliiSG_E2_EEENS0_24HipStatementListExecutorISK_NS3_4listIJNS_9statement4TileILl1ENS_10tile_fixedILl16EEENS_6policy3hip11hip_indexerINS_17iteration_mapping11StridedLoopILm0EEELNS_23kernel_sync_requirementE0EJNS_3hip11IndexGlobalILNS_9named_dimE1ELin1ELi0EEEEEEJNSO_ILl0ESQ_NST_ISW_LSX_0EJNSZ_ILS10_0ELin1ELi0EEEEEEJNSN_3ForILl1ENST_ISW_LSX_0EJNSZ_ILS10_1ELi0ELin1EEEEEEJNS15_ILl0ENST_ISW_LSX_0EJNSZ_ILS10_0ELi0ELin1EEEEEEJNSN_6LambdaILl0EJNSM_IJNS0_9LambdaArgINS0_18lambda_arg_param_tELl0EEEEEEEEENS15_ILl2ENSR_10sequential8seq_execEJNS1A_ILl1EJNSM_IJNS1B_INS0_16lambda_arg_seg_tELl0EEENS1B_IS1I_Ll1EEENS1B_IS1I_Ll2EEEEEES1E_EEEEEENS1A_ILl2EJNSM_IJS1J_S1K_EEES1E_EEEEEEEEEEEEEEEEEENS0_9LoopTypesINSM_IJvvvEEES1X_EEEEEEvT0_.kd
    .uniform_work_group_size: 1
    .uses_dynamic_stack: false
    .vgpr_count:     27
    .vgpr_spill_count: 0
    .wavefront_size: 64
amdhsa.target:   amdgcn-amd-amdhsa--gfx906
amdhsa.version:
  - 1
  - 2
...

	.end_amdgpu_metadata
